;; amdgpu-corpus repo=ROCm/aiter kind=harvested arch=n/a opt=n/a

/root/src/amdgpu-assembly/repos/ROCm__aiter/hsa/gfx950/fmoe/gelu/fmoe_fp16_pertokenFp8_g1u1_vs_multix_gelu_1tg_ps_32x128.co:	file format elf64-amdgpu

Disassembly of section .text:

0000000000002e00 <_ZN5aiter55fmoe_fp16_pertokenFp8_g1u1_vs_multix_gelu_1tg_ps_32x128E>:
	v_lshrrev_b32_e32 v1, 10, v0                               // 000000002E00: 2002008A
	v_lshrrev_b32_e32 v2, 10, v1                               // 000000002E04: 2004028A
	v_and_b32_e32 v2, 0x3ff, v2                                // 000000002E08: 260404FF 000003FF
	v_and_b32_e32 v1, 0x3ff, v1                                // 000000002E10: 260202FF 000003FF
	v_and_b32_e32 v0, 0x3ff, v0                                // 000000002E18: 260000FF 000003FF
	v_lshrrev_b32_e32 v3, 6, v0                                // 000000002E20: 20060086
	v_and_b32_e32 v0, 63, v0                                   // 000000002E24: 260000BF
	s_mov_b32 s2, s2                                           // 000000002E28: BE820002
	s_mov_b32 s3, s3                                           // 000000002E2C: BE830003
	s_mov_b32 s4, s4                                           // 000000002E30: BE840004
	s_mov_b32 s99, s2                                          // 000000002E34: BEE30002
	v_readfirstlane_b32 s7, v3                                 // 000000002E38: 7E0E0503
	s_and_b32 s1, s1, 0xffff                                   // 000000002E3C: 8601FF01 0000FFFF
	s_mov_b32 s96, 0                                           // 000000002E44: BEE00080
	s_mov_b32 s97, 0                                           // 000000002E48: BEE10080
	s_mov_b32 s100, 0                                          // 000000002E4C: BEE40080
	s_load_dword s96, s[0:1], 0x1a0                            // 000000002E50: C0021800 000001A0
	s_load_dword s97, s[0:1], 0x1b0                            // 000000002E58: C0021840 000001B0
	s_waitcnt lgkmcnt(0)                                       // 000000002E60: BF8CC07F
	s_cmp_eq_u32 s96, 0                                        // 000000002E64: BF068060
	s_cbranch_scc1 label_005C                                  // 000000002E68: BF850041
	v_cvt_f32_u32_e32 v44, s97                                 // 000000002E6C: 7E580C61
	s_sub_i32 s60, 0, s97                                      // 000000002E70: 81BC6180
	v_rcp_iflag_f32_e32 v44, v44                               // 000000002E74: 7E58472C
	s_nop 0                                                    // 000000002E78: BF800000
	v_mul_f32_e32 v44, 0x4f7ffffe, v44                         // 000000002E7C: 0A5858FF 4F7FFFFE
	v_cvt_u32_f32_e32 v44, v44                                 // 000000002E84: 7E580F2C
	v_mul_lo_u32 v45, s60, v44                                 // 000000002E88: D285002D 0002583C
	v_mul_hi_u32 v45, v44, v45                                 // 000000002E90: D286002D 00025B2C
	v_add_u32_e32 v44, v44, v45                                // 000000002E98: 68585B2C
	v_mul_hi_u32 v44, s96, v44                                 // 000000002E9C: D286002C 00025860
	v_mul_lo_u32 v45, v44, s97                                 // 000000002EA4: D285002D 0000C32C
	v_sub_u32_e32 v47, s96, v45                                // 000000002EAC: 6A5E5A60
	v_add_u32_e32 v46, 1, v44                                  // 000000002EB0: 685C5881
	v_cmp_le_u32_e32 vcc, s97, v47                             // 000000002EB4: 7D965E61
	v_subrev_u32_e32 v45, s97, v47                             // 000000002EB8: 6C5A5E61
	s_nop 0                                                    // 000000002EBC: BF800000
	v_cndmask_b32_e32 v44, v44, v46, vcc                       // 000000002EC0: 00585D2C
	v_cndmask_b32_e32 v47, v47, v45, vcc                       // 000000002EC4: 005E5B2F
	v_add_u32_e32 v45, 1, v44                                  // 000000002EC8: 685A5881
	v_cmp_le_u32_e32 vcc, s97, v47                             // 000000002ECC: 7D965E61
	s_nop 1                                                    // 000000002ED0: BF800001
	v_cndmask_b32_e32 v47, v44, v45, vcc                       // 000000002ED4: 005E5B2C
	s_nop 3                                                    // 000000002ED8: BF800003
	v_readfirstlane_b32 s98, v47                               // 000000002EDC: 7EC4052F
	s_nop 3                                                    // 000000002EE0: BF800003

0000000000002ee4 <label_0039>:
	s_mov_b32 s4, 0                                            // 000000002EE4: BE840080
	v_cvt_f32_u32_e32 v44, s97                                 // 000000002EE8: 7E580C61
	s_sub_i32 s60, 0, s97                                      // 000000002EEC: 81BC6180
	v_rcp_iflag_f32_e32 v44, v44                               // 000000002EF0: 7E58472C
	s_nop 0                                                    // 000000002EF4: BF800000
	v_mul_f32_e32 v44, 0x4f7ffffe, v44                         // 000000002EF8: 0A5858FF 4F7FFFFE
	v_cvt_u32_f32_e32 v44, v44                                 // 000000002F00: 7E580F2C
	v_mul_lo_u32 v45, s60, v44                                 // 000000002F04: D285002D 0002583C
	v_mul_hi_u32 v45, v44, v45                                 // 000000002F0C: D286002D 00025B2C
	v_add_u32_e32 v44, v44, v45                                // 000000002F14: 68585B2C
	v_mul_hi_u32 v44, s99, v44                                 // 000000002F18: D286002C 00025863
	v_mul_lo_u32 v45, v44, s97                                 // 000000002F20: D285002D 0000C32C
	v_sub_u32_e32 v47, s99, v45                                // 000000002F28: 6A5E5A63
	v_add_u32_e32 v46, 1, v44                                  // 000000002F2C: 685C5881
	v_cmp_le_u32_e32 vcc, s97, v47                             // 000000002F30: 7D965E61
	v_subrev_u32_e32 v45, s97, v47                             // 000000002F34: 6C5A5E61
	s_nop 0                                                    // 000000002F38: BF800000
	v_cndmask_b32_e32 v44, v44, v46, vcc                       // 000000002F3C: 00585D2C
	v_cndmask_b32_e32 v47, v47, v45, vcc                       // 000000002F40: 005E5B2F
	v_add_u32_e32 v45, 1, v44                                  // 000000002F44: 685A5881
	v_cmp_le_u32_e32 vcc, s97, v47                             // 000000002F48: 7D965E61
	s_nop 1                                                    // 000000002F4C: BF800001
	v_cndmask_b32_e32 v47, v44, v45, vcc                       // 000000002F50: 005E5B2C
	s_nop 3                                                    // 000000002F54: BF800003
	v_readfirstlane_b32 s3, v47                                // 000000002F58: 7E06052F
	s_nop 3                                                    // 000000002F5C: BF800003
	s_mul_i32 s60, s3, s97                                     // 000000002F60: 923C6103
	s_sub_u32 s2, s99, s60                                     // 000000002F64: 80823C63
	s_mul_i32 s60, s98, s100                                   // 000000002F68: 923C6462
	s_add_i32 s3, s3, s60                                      // 000000002F6C: 81033C03

0000000000002f70 <label_005C>:
	s_and_b32 s1, s1, 0xffff                                   // 000000002F70: 8601FF01 0000FFFF
	s_load_dwordx2 s[8:9], s[0:1], 0x0                         // 000000002F78: C0060200 00000000
	s_load_dwordx2 s[20:21], s[0:1], 0x10                      // 000000002F80: C0060500 00000010
	s_load_dwordx2 s[24:25], s[0:1], 0x20                      // 000000002F88: C0060600 00000020
	s_load_dwordx2 s[50:51], s[0:1], 0x30                      // 000000002F90: C0060C80 00000030
	s_load_dwordx2 s[12:13], s[0:1], 0x40                      // 000000002F98: C0060300 00000040
	s_load_dwordx2 s[28:29], s[0:1], 0x50                      // 000000002FA0: C0060700 00000050
	s_load_dwordx2 s[32:33], s[0:1], 0x60                      // 000000002FA8: C0060800 00000060
	s_load_dwordx2 s[16:17], s[0:1], 0x70                      // 000000002FB0: C0060400 00000070
	s_load_dwordx2 s[36:37], s[0:1], 0x80                      // 000000002FB8: C0060900 00000080
	s_load_dwordx2 s[44:45], s[0:1], 0x90                      // 000000002FC0: C0060B00 00000090
	s_load_dwordx2 s[40:41], s[0:1], 0xa0                      // 000000002FC8: C0060A00 000000A0
	s_load_dwordx2 s[46:47], s[0:1], 0xb0                      // 000000002FD0: C0060B80 000000B0
	s_load_dword s64, s[0:1], 0xc0                             // 000000002FD8: C0021000 000000C0
	s_load_dword s65, s[0:1], 0xd0                             // 000000002FE0: C0021040 000000D0
	s_load_dword s67, s[0:1], 0xf0                             // 000000002FE8: C00210C0 000000F0
	s_load_dword s68, s[0:1], 0x100                            // 000000002FF0: C0021100 00000100
	s_load_dword s69, s[0:1], 0x110                            // 000000002FF8: C0021140 00000110
	s_load_dword s70, s[0:1], 0x120                            // 000000003000: C0021180 00000120
	s_load_dword s71, s[0:1], 0x130                            // 000000003008: C00211C0 00000130
	s_load_dword s72, s[0:1], 0x140                            // 000000003010: C0021200 00000140
	s_load_dword s73, s[0:1], 0x150                            // 000000003018: C0021240 00000150
	s_load_dword s74, s[0:1], 0x160                            // 000000003020: C0021280 00000160
	s_load_dword s75, s[0:1], 0x170                            // 000000003028: C00212C0 00000170
	s_load_dword s76, s[0:1], 0x180                            // 000000003030: C0021300 00000180
	s_load_dword s63, s[0:1], 0x190                            // 000000003038: C0020FC0 00000190
	s_mov_b32 s2, s2                                           // 000000003040: BE820002
	s_mov_b32 s3, s3                                           // 000000003044: BE830003
	s_mov_b32 s4, s4                                           // 000000003048: BE840004
	s_waitcnt lgkmcnt(0)                                       // 00000000304C: BF8CC07F
	s_and_b32 s51, s51, 0xffff                                 // 000000003050: 8633FF33 0000FFFF
	s_load_dword s66, s[50:51], 0x4                            // 000000003058: C0021099 00000004
	s_load_dword s50, s[50:51], 0x0                            // 000000003060: C0020C99 00000000
	s_waitcnt lgkmcnt(0)                                       // 000000003068: BF8CC07F
	s_and_b32 s45, s45, 0xffff                                 // 00000000306C: 862DFF2D 0000FFFF
	s_and_b32 s47, s47, 0xffff                                 // 000000003074: 862FFF2F 0000FFFF
	s_and_b32 s9, s9, 0xffff                                   // 00000000307C: 8609FF09 0000FFFF
	s_mul_i32 s60, s66, s68                                    // 000000003084: 923C4442
	s_mul_i32 s60, s63, s60                                    // 000000003088: 923C3C3F
	s_mul_i32 s61, s66, 4                                      // 00000000308C: 923D8442
	s_mul_i32 s61, s63, s61                                    // 000000003090: 923D3D3F
	s_mov_b32 s22, s60                                         // 000000003094: BE96003C
	s_mov_b32 s26, -16                                         // 000000003098: BE9A00D0
	s_mov_b32 s14, -16                                         // 00000000309C: BE8E00D0
	s_mov_b32 s42, -16                                         // 0000000030A0: BEAA00D0
	s_mov_b32 s30, s61                                         // 0000000030A4: BE9E003D
	s_mov_b32 s34, 0x200                                       // 0000000030A8: BEA200FF 00000200
	s_mov_b32 s38, 0x200                                       // 0000000030B0: BEA600FF 00000200
	s_mov_b32 s18, -16                                         // 0000000030B8: BE9200D0
	s_mov_b32 s23, 0x20000                                     // 0000000030BC: BE9700FF 00020000
	s_mov_b32 s27, 0x20000                                     // 0000000030C4: BE9B00FF 00020000
	s_mov_b32 s15, 0x20000                                     // 0000000030CC: BE8F00FF 00020000
	s_mov_b32 s43, 0x20000                                     // 0000000030D4: BEAB00FF 00020000
	s_mov_b32 s31, 0x20000                                     // 0000000030DC: BE9F00FF 00020000
	s_mov_b32 s35, 0x20000                                     // 0000000030E4: BEA300FF 00020000
	s_mov_b32 s39, 0x20000                                     // 0000000030EC: BEA700FF 00020000
	s_mov_b32 s19, 0x20000                                     // 0000000030F4: BE9300FF 00020000
	s_and_b32 s21, s21, 0xffff                                 // 0000000030FC: 8615FF15 0000FFFF
	s_and_b32 s25, s25, 0xffff                                 // 000000003104: 8619FF19 0000FFFF
	s_and_b32 s13, s13, 0xffff                                 // 00000000310C: 860DFF0D 0000FFFF
	s_and_b32 s41, s41, 0xffff                                 // 000000003114: 8629FF29 0000FFFF
	s_and_b32 s29, s29, 0xffff                                 // 00000000311C: 861DFF1D 0000FFFF
	s_and_b32 s33, s33, 0xffff                                 // 000000003124: 8621FF21 0000FFFF
	s_and_b32 s37, s37, 0xffff                                 // 00000000312C: 8625FF25 0000FFFF
	s_and_b32 s17, s17, 0xffff                                 // 000000003134: 8611FF11 0000FFFF
	s_or_b32 s21, s21, 0x40000                                 // 00000000313C: 8715FF15 00040000
	s_or_b32 s25, s25, 0x40000                                 // 000000003144: 8719FF19 00040000
	s_or_b32 s13, s13, 0x40000                                 // 00000000314C: 870DFF0D 00040000
	s_or_b32 s41, s41, 0x40000                                 // 000000003154: 8729FF29 00040000
	s_or_b32 s29, s29, 0x40000                                 // 00000000315C: 871DFF1D 00040000
	s_or_b32 s33, s33, 0x40000                                 // 000000003164: 8721FF21 00040000
	s_or_b32 s37, s37, 0x40000                                 // 00000000316C: 8725FF25 00040000
	s_or_b32 s17, s17, 0x40000                                 // 000000003174: 8711FF11 00040000
	v_accvgpr_write_b32 a63, 0                                 // 00000000317C: D3D9403F 18000080
	v_mov_b32_e32 v207, 0                                      // 000000003184: 7F9E0280
	s_waitcnt lgkmcnt(0)                                       // 000000003188: BF8CC07F
	s_mul_i32 s60, s3, 32                                      // 00000000318C: 923CA003
	s_cmp_lt_i32 s60, s50                                      // 000000003190: BF04323C
	s_cbranch_scc0 label_1095                                  // 000000003194: BF840FAF
	s_mov_b32 s80, 0                                           // 000000003198: BED00080
	s_mov_b32 s81, s64                                         // 00000000319C: BED10040
	s_mul_i32 s60, s3, 4                                       // 0000000031A0: 923C8403
	s_add_u32 s46, s60, s46                                    // 0000000031A4: 802E2E3C
	s_addc_u32 s47, 0, s47                                     // 0000000031A8: 822F2F80
	s_load_dword s5, s[46:47], 0x0                             // 0000000031AC: C0020157 00000000
	s_mul_i32 s60, s3, 32                                      // 0000000031B4: 923CA003
	s_mul_i32 s60, 4, s60                                      // 0000000031B8: 923C3C84
	v_and_b32_e32 v44, 15, v0                                  // 0000000031BC: 2658008F
	v_lshlrev_b32_e32 v44, 2, v44                              // 0000000031C0: 24585882
	v_add_u32_e32 v44, s60, v44                                // 0000000031C4: 6858583C
	v_mov_b32_e32 v45, 0                                       // 0000000031C8: 7E5A0280
	global_load_dword v6, v44, s[44:45]                        // 0000000031CC: DC508000 062C002C
	v_add_u32_e32 v44, 64, v44                                 // 0000000031D4: 685858C0
	global_load_dword v7, v44, s[44:45]                        // 0000000031D8: DC508000 072C002C
	s_mul_i32 s60, s3, 32                                      // 0000000031E0: 923CA003
	s_add_u32 s60, s7, s60                                     // 0000000031E4: 803C3C07
	s_mul_i32 s60, 4, s60                                      // 0000000031E8: 923C3C84
	s_add_u32 s44, s60, s44                                    // 0000000031EC: 802C2C3C
	s_addc_u32 s45, 0, s45                                     // 0000000031F0: 822D2D80
	s_load_dword s82, s[44:45], 0x0                            // 0000000031F4: C0021496 00000000
	s_load_dword s83, s[44:45], 0x10                           // 0000000031FC: C00214D6 00000010
	s_load_dword s84, s[44:45], 0x20                           // 000000003204: C0021516 00000020
	s_load_dword s85, s[44:45], 0x30                           // 00000000320C: C0021556 00000030
	s_load_dword s86, s[44:45], 0x40                           // 000000003214: C0021596 00000040
	s_load_dword s87, s[44:45], 0x50                           // 00000000321C: C00215D6 00000050
	s_load_dword s88, s[44:45], 0x60                           // 000000003224: C0021616 00000060
	s_load_dword s89, s[44:45], 0x70                           // 00000000322C: C0021656 00000070
	s_waitcnt lgkmcnt(0)                                       // 000000003234: BF8CC07F
	v_lshlrev_b32_e32 v44, 2, v0                               // 000000003238: 24580082
	s_lshr_b32 s61, s82, 24                                    // 00000000323C: 8F3D9852
	s_mul_i32 s61, s61, s68                                    // 000000003240: 923D443D
	s_mul_i32 s61, s61, s66                                    // 000000003244: 923D423D
	s_and_b32 s82, s82, 0xffffff                               // 000000003248: 8652FF52 00FFFFFF
	s_mul_i32 s60, s82, s68                                    // 000000003250: 923C4452
	s_add_u32 s60, s61, s60                                    // 000000003254: 803C3C3D
	v_add_u32_e64 v24, v44, s60                                // 000000003258: D1340018 0000792C
	s_lshr_b32 s61, s83, 24                                    // 000000003260: 8F3D9853
	s_mul_i32 s61, s61, s68                                    // 000000003264: 923D443D
	s_mul_i32 s61, s61, s66                                    // 000000003268: 923D423D
	s_and_b32 s83, s83, 0xffffff                               // 00000000326C: 8653FF53 00FFFFFF
	s_mul_i32 s60, s83, s68                                    // 000000003274: 923C4453
	s_add_u32 s60, s61, s60                                    // 000000003278: 803C3C3D
	v_add_u32_e64 v25, v44, s60                                // 00000000327C: D1340019 0000792C
	s_lshr_b32 s61, s84, 24                                    // 000000003284: 8F3D9854
	s_mul_i32 s61, s61, s68                                    // 000000003288: 923D443D
	s_mul_i32 s61, s61, s66                                    // 00000000328C: 923D423D
	s_and_b32 s84, s84, 0xffffff                               // 000000003290: 8654FF54 00FFFFFF
	s_mul_i32 s60, s84, s68                                    // 000000003298: 923C4454
	s_add_u32 s60, s61, s60                                    // 00000000329C: 803C3C3D
	v_add_u32_e64 v26, v44, s60                                // 0000000032A0: D134001A 0000792C
	s_lshr_b32 s61, s85, 24                                    // 0000000032A8: 8F3D9855
	s_mul_i32 s61, s61, s68                                    // 0000000032AC: 923D443D
	s_mul_i32 s61, s61, s66                                    // 0000000032B0: 923D423D
	s_and_b32 s85, s85, 0xffffff                               // 0000000032B4: 8655FF55 00FFFFFF
	s_mul_i32 s60, s85, s68                                    // 0000000032BC: 923C4455
	s_add_u32 s60, s61, s60                                    // 0000000032C0: 803C3C3D
	v_add_u32_e64 v27, v44, s60                                // 0000000032C4: D134001B 0000792C
	s_lshr_b32 s61, s86, 24                                    // 0000000032CC: 8F3D9856
	s_mul_i32 s61, s61, s68                                    // 0000000032D0: 923D443D
	s_mul_i32 s61, s61, s66                                    // 0000000032D4: 923D423D
	s_and_b32 s86, s86, 0xffffff                               // 0000000032D8: 8656FF56 00FFFFFF
	s_mul_i32 s60, s86, s68                                    // 0000000032E0: 923C4456
	s_add_u32 s60, s61, s60                                    // 0000000032E4: 803C3C3D
	v_add_u32_e64 v28, v44, s60                                // 0000000032E8: D134001C 0000792C
	s_lshr_b32 s61, s87, 24                                    // 0000000032F0: 8F3D9857
	s_mul_i32 s61, s61, s68                                    // 0000000032F4: 923D443D
	s_mul_i32 s61, s61, s66                                    // 0000000032F8: 923D423D
	s_and_b32 s87, s87, 0xffffff                               // 0000000032FC: 8657FF57 00FFFFFF
	s_mul_i32 s60, s87, s68                                    // 000000003304: 923C4457
	s_add_u32 s60, s61, s60                                    // 000000003308: 803C3C3D
	v_add_u32_e64 v29, v44, s60                                // 00000000330C: D134001D 0000792C
	s_lshr_b32 s61, s88, 24                                    // 000000003314: 8F3D9858
	s_mul_i32 s61, s61, s68                                    // 000000003318: 923D443D
	s_mul_i32 s61, s61, s66                                    // 00000000331C: 923D423D
	s_and_b32 s88, s88, 0xffffff                               // 000000003320: 8658FF58 00FFFFFF
	s_mul_i32 s60, s88, s68                                    // 000000003328: 923C4458
	s_add_u32 s60, s61, s60                                    // 00000000332C: 803C3C3D
	v_add_u32_e64 v30, v44, s60                                // 000000003330: D134001E 0000792C
	s_lshr_b32 s61, s89, 24                                    // 000000003338: 8F3D9859
	s_mul_i32 s61, s61, s68                                    // 00000000333C: 923D443D
	s_mul_i32 s61, s61, s66                                    // 000000003340: 923D423D
	s_and_b32 s89, s89, 0xffffff                               // 000000003344: 8659FF59 00FFFFFF
	s_mul_i32 s60, s89, s68                                    // 00000000334C: 923C4459
	s_add_u32 s60, s61, s60                                    // 000000003350: 803C3C3D
	v_add_u32_e64 v31, v44, s60                                // 000000003354: D134001F 0000792C
	v_lshlrev_b32_e32 v44, 2, v0                               // 00000000335C: 24580082
	s_mul_i32 s60, s82, s71                                    // 000000003360: 923C4752
	v_add_u32_e64 v80, v44, s60                                // 000000003364: D1340050 0000792C
	v_mov_b32_e32 v81, 0                                       // 00000000336C: 7EA20280
	s_mul_i32 s60, s83, s71                                    // 000000003370: 923C4753
	v_add_u32_e64 v82, v44, s60                                // 000000003374: D1340052 0000792C
	v_mov_b32_e32 v83, 0                                       // 00000000337C: 7EA60280
	s_mul_i32 s60, s84, s71                                    // 000000003380: 923C4754
	v_add_u32_e64 v84, v44, s60                                // 000000003384: D1340054 0000792C
	v_mov_b32_e32 v85, 0                                       // 00000000338C: 7EAA0280
	s_mul_i32 s60, s85, s71                                    // 000000003390: 923C4755
	v_add_u32_e64 v86, v44, s60                                // 000000003394: D1340056 0000792C
	v_mov_b32_e32 v87, 0                                       // 00000000339C: 7EAE0280
	s_mul_i32 s60, s86, s71                                    // 0000000033A0: 923C4756
	v_add_u32_e64 v88, v44, s60                                // 0000000033A4: D1340058 0000792C
	v_mov_b32_e32 v89, 0                                       // 0000000033AC: 7EB20280
	s_mul_i32 s60, s87, s71                                    // 0000000033B0: 923C4757
	v_add_u32_e64 v90, v44, s60                                // 0000000033B4: D134005A 0000792C
	v_mov_b32_e32 v91, 0                                       // 0000000033BC: 7EB60280
	s_mul_i32 s60, s88, s71                                    // 0000000033C0: 923C4758
	v_add_u32_e64 v92, v44, s60                                // 0000000033C4: D134005C 0000792C
	v_mov_b32_e32 v93, 0                                       // 0000000033CC: 7EBA0280
	s_mul_i32 s60, s89, s71                                    // 0000000033D0: 923C4759
	v_add_u32_e64 v94, v44, s60                                // 0000000033D4: D134005E 0000792C
	v_mov_b32_e32 v95, 0                                       // 0000000033DC: 7EBE0280
	s_mul_i32 s60, s7, 0x820                                   // 0000000033E0: 923CFF07 00000820
	s_add_u32 s50, 0, s60                                      // 0000000033E8: 80323C80
	s_add_u32 s51, 0x2080, s50                                 // 0000000033EC: 803332FF 00002080
	v_lshrrev_b32_e32 v44, 4, v0                               // 0000000033F4: 20580084
	v_lshlrev_b32_e32 v45, 2, v44                              // 0000000033F8: 245A5882
	v_and_b32_e32 v44, 15, v0                                  // 0000000033FC: 2658008F
	v_lshrrev_b32_e32 v46, 2, v44                              // 000000003400: 205C5882
	v_lshlrev_b32_e32 v46, 6, v46                              // 000000003404: 245C5C86
	v_add_u32_e32 v45, v46, v45                                // 000000003408: 685A5B2E
	v_and_b32_e32 v44, 3, v0                                   // 00000000340C: 26580083
	v_mul_i32_i24_e32 v46, 0x208, v44                          // 000000003410: 0C5C58FF 00000208
	v_add_u32_e32 v45, v46, v45                                // 000000003418: 685A5B2E
	v_lshlrev_b32_e32 v2, 2, v45                               // 00000000341C: 24045A82
	s_mul_i32 s60, s2, 0x80                                    // 000000003420: 923CFF02 00000080
	s_mul_i32 s60, s60, s69                                    // 000000003428: 923C453C
	s_mul_i32 s61, s5, s72                                     // 00000000342C: 923D4805
	s_add_u32 s60, s61, s60                                    // 000000003430: 803C3C3D
	s_add_u32 s24, s60, s24                                    // 000000003434: 8018183C
	s_addc_u32 s25, 0, s25                                     // 000000003438: 82191980
	s_mul_i32 s60, s7, 16                                      // 00000000343C: 923C9007
	s_mul_i32 s60, s60, s69                                    // 000000003440: 923C453C
	v_lshlrev_b32_e32 v32, 4, v0                               // 000000003444: 24400084
	v_add_u32_e32 v32, s60, v32                                // 000000003448: 6840403C
	s_mul_i32 s60, 64, s69                                     // 00000000344C: 923C45C0
	v_add_u32_e32 v33, s60, v32                                // 000000003450: 6842403C
	s_mov_b32 s92, s24                                         // 000000003454: BEDC0018
	s_mov_b32 s93, s25                                         // 000000003458: BEDD0019
	s_mov_b32 s94, s26                                         // 00000000345C: BEDE001A
	s_mov_b32 s95, s27                                         // 000000003460: BEDF001B
	s_mul_i32 s60, s69, s65                                    // 000000003464: 923C4145
	s_add_u32 s92, s60, s92                                    // 000000003468: 805C5C3C
	s_addc_u32 s93, 0, s93                                     // 00000000346C: 825D5D80
	s_mul_i32 s60, s2, 0x800                                   // 000000003470: 923CFF02 00000800
	s_mul_i32 s61, s5, s73                                     // 000000003478: 923D4905
	s_add_u32 s60, s61, s60                                    // 00000000347C: 803C3C3D
	s_add_u32 s12, s60, s12                                    // 000000003480: 800C0C3C
	s_addc_u32 s13, 0, s13                                     // 000000003484: 820D0D80
	s_mul_i32 s60, s7, 16                                      // 000000003488: 923C9007
	s_mul_i32 s60, s60, s70                                    // 00000000348C: 923C463C
	v_lshlrev_b32_e32 v34, 4, v0                               // 000000003490: 24440084
	v_add_u32_e32 v34, s60, v34                                // 000000003494: 6844443C
	s_mul_i32 s60, 64, s70                                     // 000000003498: 923C46C0
	v_add_u32_e32 v35, s60, v34                                // 00000000349C: 6846443C
	v_add_u32_e32 v36, s60, v35                                // 0000000034A0: 6848463C
	v_add_u32_e32 v37, s60, v36                                // 0000000034A4: 684A483C
	s_mul_i32 s60, s70, 0x100                                  // 0000000034A8: 923CFF46 00000100
	s_mov_b32 s78, 0x400                                       // 0000000034B0: BECE00FF 00000400
	s_mul_i32 s61, s78, 1                                      // 0000000034B8: 923D814E
	s_sub_u32 s56, s60, s61                                    // 0000000034BC: 80B83D3C
	s_mul_i32 s60, s3, 32                                      // 0000000034C0: 923CA003
	s_mul_i32 s60, 4, s60                                      // 0000000034C4: 923C3C84
	s_add_u32 s40, s60, s40                                    // 0000000034C8: 8028283C
	s_addc_u32 s41, 0, s41                                     // 0000000034CC: 82292980
	v_and_b32_e32 v44, 15, v0                                  // 0000000034D0: 2658008F
	v_lshlrev_b32_e32 v8, 2, v44                               // 0000000034D4: 24105882
	v_add_u32_e32 v9, 64, v8                                   // 0000000034D8: 681210C0
	v_lshrrev_b32_e32 v44, 4, v0                               // 0000000034DC: 20580084
	v_lshlrev_b32_e32 v45, 2, v44                              // 0000000034E0: 245A5882
	v_and_b32_e32 v44, 15, v0                                  // 0000000034E4: 2658008F
	v_lshrrev_b32_e32 v46, 2, v44                              // 0000000034E8: 205C5882
	v_lshlrev_b32_e32 v46, 6, v46                              // 0000000034EC: 245C5C86
	v_add_u32_e32 v45, v46, v45                                // 0000000034F0: 685A5B2E
	v_and_b32_e32 v44, 3, v0                                   // 0000000034F4: 26580083
	v_add_u32_e32 v45, v44, v45                                // 0000000034F8: 685A5B2C
	v_lshlrev_b32_e32 v10, 2, v45                              // 0000000034FC: 24145A82
	v_add_u32_e32 v11, 0x400, v10                              // 000000003500: 681614FF 00000400
	s_mul_i32 s60, s7, 16                                      // 000000003508: 923C9007
	s_mul_i32 s60, s60, 4                                      // 00000000350C: 923C843C
	v_add_u32_e32 v10, s60, v10                                // 000000003510: 6814143C
	v_add_u32_e32 v11, s60, v11                                // 000000003514: 6816163C
	v_mov_b32_e32 v5, v10                                      // 000000003518: 7E0A030A
	s_mul_i32 s60, s2, 0x80                                    // 00000000351C: 923CFF02 00000080
	s_mul_i32 s60, s60, 4                                      // 000000003524: 923C843C
	s_mul_i32 s61, s5, s74                                     // 000000003528: 923D4A05
	s_add_u32 s61, s61, s60                                    // 00000000352C: 803D3C3D
	s_mul_i32 s62, s5, s76                                     // 000000003530: 923E4C05
	s_add_u32 s62, s62, s60                                    // 000000003534: 803E3C3E
	s_add_u32 s32, s61, s32                                    // 000000003538: 8020203D
	s_addc_u32 s33, 0, s33                                     // 00000000353C: 82212180
	s_add_u32 s36, s62, s36                                    // 000000003540: 8024243E
	s_addc_u32 s37, 0, s37                                     // 000000003544: 82252580
	s_mul_i32 s60, s5, s75                                     // 000000003548: 923C4B05
	s_add_u32 s16, s60, s16                                    // 00000000354C: 8010103C
	s_addc_u32 s17, 0, s17                                     // 000000003550: 82111180
	s_mov_b32 s57, 0x100                                       // 000000003554: BEB900FF 00000100
	s_mov_b32 s58, 0x1000                                      // 00000000355C: BEBA00FF 00001000
	s_mov_b32 s79, 0x400                                       // 000000003564: BECF00FF 00000400
	s_mov_b32 s59, 0x200                                       // 00000000356C: BEBB00FF 00000200
	s_mov_b32 s90, s58                                         // 000000003574: BEDA003A
	s_mov_b32 s52, 0x7060302                                   // 000000003578: BEB400FF 07060302
	s_mov_b32 s53, 0x400                                       // 000000003580: BEB500FF 00000400
	s_mov_b32 s54, 0x40100                                     // 000000003588: BEB600FF 00040100
	s_mov_b32 s55, 0x4020100                                   // 000000003590: BEB700FF 04020100
	s_mov_b32 s6, 0x3fb8aa3b                                   // 000000003598: BE8600FF 3FB8AA3B
	s_mov_b32 s77, 0xbd92220c                                  // 0000000035A0: BECD00FF BD92220C
	s_mov_b32 m0, s50                                          // 0000000035A8: BEFC0032
	v_mov_b32_e32 v1, 0xbfcc4231                               // 0000000035AC: 7E0202FF BFCC4231
	v_mov_b32_e32 v39, 0xffff0000                              // 0000000035B4: 7E4E02FF FFFF0000
	v_mov_b32_e32 v40, 0x7fff0000                              // 0000000035BC: 7E5002FF 7FFF0000
	v_mov_b32_e32 v41, 0x7fff                                  // 0000000035C4: 7E5202FF 00007FFF
	s_waitcnt vmcnt(0) expcnt(0) lgkmcnt(0)                    // 0000000035CC: BF8C0000
	v_lshrrev_b32_e32 v44, 24, v6                              // 0000000035D0: 20580C98
	v_mul_i32_i24_e32 v44, s66, v44                            // 0000000035D4: 0C585842
	v_and_b32_e32 v45, 0xffffff, v6                            // 0000000035D8: 265A0CFF 00FFFFFF
	v_add_u32_e32 v6, v44, v45                                 // 0000000035E0: 680C5B2C
	v_lshrrev_b32_e32 v44, 24, v7                              // 0000000035E4: 20580E98
	v_mul_i32_i24_e32 v44, s66, v44                            // 0000000035E8: 0C585842
	v_and_b32_e32 v45, 0xffffff, v7                            // 0000000035EC: 265A0EFF 00FFFFFF
	v_add_u32_e32 v7, v44, v45                                 // 0000000035F4: 680E5B2C
	v_lshlrev_b32_e32 v6, 2, v6                                // 0000000035F8: 240C0C82
	v_lshlrev_b32_e32 v7, 2, v7                                // 0000000035FC: 240E0E82
	buffer_load_dword v13, v6, s[28:31], 0 offen               // 000000003600: E0501000 80070D06
	buffer_load_dword v14, v7, s[28:31], 0 offen               // 000000003608: E0501000 80070E07
	buffer_load_dword v15, v10, s[32:35], 0 offen              // 000000003610: E0501000 80080F0A
	buffer_load_dword v16, v11, s[32:35], 0 offen              // 000000003618: E0501000 8008100B
	s_mul_i32 s60, 4, s65                                      // 000000003620: 923C4184
	s_add_u32 s32, s60, s32                                    // 000000003624: 8020203C
	s_addc_u32 s33, 0, s33                                     // 000000003628: 82212180
	buffer_load_dword v42, v10, s[32:35], 0 offen              // 00000000362C: E0501000 80082A0A
	buffer_load_dword v43, v11, s[32:35], 0 offen              // 000000003634: E0501000 80082B0B
	buffer_load_dword v16, v10, s[36:39], 0 offen              // 00000000363C: E0501000 8009100A
	buffer_load_dword v17, v11, s[36:39], 0 offen              // 000000003644: E0501000 8009110B
	buffer_load_dword v17, v8, s[40:43], 0 offen               // 00000000364C: E0501000 800A1108
	buffer_load_dword v18, v9, s[40:43], 0 offen               // 000000003654: E0501000 800A1209
	buffer_load_dword v24, s[20:23], 0 offen lds               // 00000000365C: E0511000 80050018
	s_add_u32 m0, 0x100, s50                                   // 000000003664: 807C32FF 00000100
	buffer_load_dword v25, s[20:23], 0 offen lds               // 00000000366C: E0511000 80050019
	s_add_u32 m0, 0x200, s50                                   // 000000003674: 807C32FF 00000200
	buffer_load_dword v26, s[20:23], 0 offen lds               // 00000000367C: E0511000 8005001A
	s_add_u32 m0, 0x300, s50                                   // 000000003684: 807C32FF 00000300
	buffer_load_dword v27, s[20:23], 0 offen lds               // 00000000368C: E0511000 8005001B
	s_add_u32 m0, 0x400, s50                                   // 000000003694: 807C32FF 00000400
	buffer_load_dword v28, s[20:23], 0 offen lds               // 00000000369C: E0511000 8005001C
	s_add_u32 m0, 0x500, s50                                   // 0000000036A4: 807C32FF 00000500
	buffer_load_dword v29, s[20:23], 0 offen lds               // 0000000036AC: E0511000 8005001D
	s_add_u32 m0, 0x600, s50                                   // 0000000036B4: 807C32FF 00000600
	buffer_load_dword v30, s[20:23], 0 offen lds               // 0000000036BC: E0511000 8005001E
	s_add_u32 m0, 0x700, s50                                   // 0000000036C4: 807C32FF 00000700
	buffer_load_dword v31, s[20:23], 0 offen lds               // 0000000036CC: E0511000 8005001F
	s_add_u32 m0, 0, s51                                       // 0000000036D4: 807C3380
	s_add_u32 s20, s57, s20                                    // 0000000036D8: 80141439
	s_addc_u32 s21, 0, s21                                     // 0000000036DC: 82151580
	buffer_load_dwordx4 a[0:3], v32, s[24:27], 0 offen         // 0000000036E0: E05C1000 80860020
	buffer_load_dwordx4 a[4:7], v32, s[24:27], 0 offen offset:1024// 0000000036E8: E05C1400 80860420
	buffer_load_dwordx4 a[8:11], v32, s[24:27], 0 offen offset:2048// 0000000036F0: E05C1800 80860820
	buffer_load_dwordx4 a[12:15], v32, s[24:27], 0 offen offset:3072// 0000000036F8: E05C1C00 80860C20
	buffer_load_dwordx4 a[16:19], v33, s[24:27], 0 offen       // 000000003700: E05C1000 80861021
	buffer_load_dwordx4 a[20:23], v33, s[24:27], 0 offen offset:1024// 000000003708: E05C1400 80861421
	buffer_load_dwordx4 a[24:27], v33, s[24:27], 0 offen offset:2048// 000000003710: E05C1800 80861821
	buffer_load_dwordx4 a[28:31], v33, s[24:27], 0 offen offset:3072// 000000003718: E05C1C00 80861C21
	s_add_u32 s24, s58, s24                                    // 000000003720: 8018183A
	s_addc_u32 s25, 0, s25                                     // 000000003724: 82191980
	v_mov_b32_e32 v128, 0                                      // 000000003728: 7F000280
	v_mov_b32_e32 v64, 0                                       // 00000000372C: 7E800280
	v_mov_b32_e32 v129, 0                                      // 000000003730: 7F020280
	v_mov_b32_e32 v65, 0                                       // 000000003734: 7E820280
	v_mov_b32_e32 v130, 0                                      // 000000003738: 7F040280
	v_mov_b32_e32 v66, 0                                       // 00000000373C: 7E840280
	v_mov_b32_e32 v131, 0                                      // 000000003740: 7F060280
	v_mov_b32_e32 v67, 0                                       // 000000003744: 7E860280
	v_mov_b32_e32 v132, 0                                      // 000000003748: 7F080280
	v_mov_b32_e32 v68, 0                                       // 00000000374C: 7E880280
	v_mov_b32_e32 v133, 0                                      // 000000003750: 7F0A0280
	v_mov_b32_e32 v69, 0                                       // 000000003754: 7E8A0280
	v_mov_b32_e32 v134, 0                                      // 000000003758: 7F0C0280
	v_mov_b32_e32 v70, 0                                       // 00000000375C: 7E8C0280
	v_mov_b32_e32 v135, 0                                      // 000000003760: 7F0E0280
	v_mov_b32_e32 v71, 0                                       // 000000003764: 7E8E0280
	v_mov_b32_e32 v136, 0                                      // 000000003768: 7F100280
	v_mov_b32_e32 v72, 0                                       // 00000000376C: 7E900280
	v_mov_b32_e32 v137, 0                                      // 000000003770: 7F120280
	v_mov_b32_e32 v73, 0                                       // 000000003774: 7E920280
	v_mov_b32_e32 v138, 0                                      // 000000003778: 7F140280
	v_mov_b32_e32 v74, 0                                       // 00000000377C: 7E940280
	v_mov_b32_e32 v139, 0                                      // 000000003780: 7F160280
	v_mov_b32_e32 v75, 0                                       // 000000003784: 7E960280
	v_mov_b32_e32 v140, 0                                      // 000000003788: 7F180280
	v_mov_b32_e32 v76, 0                                       // 00000000378C: 7E980280
	v_mov_b32_e32 v141, 0                                      // 000000003790: 7F1A0280
	v_mov_b32_e32 v77, 0                                       // 000000003794: 7E9A0280
	v_mov_b32_e32 v142, 0                                      // 000000003798: 7F1C0280
	v_mov_b32_e32 v78, 0                                       // 00000000379C: 7E9C0280
	v_mov_b32_e32 v143, 0                                      // 0000000037A0: 7F1E0280
	v_mov_b32_e32 v79, 0                                       // 0000000037A4: 7E9E0280
	v_lshrrev_b32_e32 v44, 4, v0                               // 0000000037A8: 20580084
	v_mul_i32_i24_e32 v3, 34, v44                              // 0000000037AC: 0C0658A2
	v_and_b32_e32 v44, 15, v0                                  // 0000000037B0: 2658008F
	v_mul_i32_i24_e32 v45, 2, v44                              // 0000000037B4: 0C5A5882
	v_add_u32_e32 v3, v45, v3                                  // 0000000037B8: 6806072D
	s_mul_i32 s60, s7, 0x88                                    // 0000000037BC: 923CFF07 00000088
	v_add_u32_e32 v3, s60, v3                                  // 0000000037C4: 6806063C
	v_lshlrev_b32_e32 v3, 2, v3                                // 0000000037C8: 24060682
	v_lshrrev_b32_e32 v44, 1, v0                               // 0000000037CC: 20580081
	v_mul_i32_i24_e32 v4, 34, v44                              // 0000000037D0: 0C0858A2
	v_and_b32_e32 v45, 1, v0                                   // 0000000037D4: 265A0081
	v_add_u32_e32 v4, v45, v4                                  // 0000000037D8: 6808092D
	s_mul_i32 s60, s7, 2                                       // 0000000037DC: 923C8207
	v_add_u32_e32 v4, s60, v4                                  // 0000000037E0: 6808083C
	v_lshlrev_b32_e32 v4, 2, v4                                // 0000000037E4: 24080882
	s_waitcnt vmcnt(8)                                         // 0000000037E8: BF8C0F78
	s_barrier                                                  // 0000000037EC: BF8A0000
	ds_read_b128 v[144:147], v2                                // 0000000037F0: D9FE0000 90000002
	ds_read_b128 v[148:151], v2 offset:64                      // 0000000037F8: D9FE0040 94000002
	ds_read_b128 v[152:155], v2 offset:128                     // 000000003800: D9FE0080 98000002
	ds_read_b128 v[156:159], v2 offset:192                     // 000000003808: D9FE00C0 9C000002
	ds_read_b128 v[160:163], v2 offset:1024                    // 000000003810: D9FE0400 A0000002
	ds_read_b128 v[164:167], v2 offset:1088                    // 000000003818: D9FE0440 A4000002
	ds_read_b128 v[168:171], v2 offset:1152                    // 000000003820: D9FE0480 A8000002
	ds_read_b128 v[172:175], v2 offset:1216                    // 000000003828: D9FE04C0 AC000002
	s_cmp_lt_i32 s7, 2                                         // 000000003830: BF048207
	s_cbranch_scc0 label_0991                                  // 000000003834: BF840703

0000000000003838 <label_028E>:
	s_waitcnt vmcnt(0) lgkmcnt(0)                              // 000000003838: BF8C0070
	s_barrier                                                  // 00000000383C: BF8A0000
	v_mfma_f32_16x16x32_fp8_fp8 v[128:131], a[0:1], v[144:145], v[128:131]// 000000003840: D3F30080 0E032100
	v_mfma_f32_16x16x32_fp8_fp8 v[128:131], a[2:3], v[146:147], v[128:131]// 000000003848: D3F30080 0E032502
	buffer_load_dwordx4 a[32:35], v32, s[92:95], 0 offen       // 000000003850: E05C1000 80972020
	v_mfma_f32_16x16x32_fp8_fp8 v[128:131], a[4:5], v[148:149], v[128:131]// 000000003858: D3F30080 0E032904
	v_mfma_f32_16x16x32_fp8_fp8 v[128:131], a[6:7], v[150:151], v[128:131]// 000000003860: D3F30080 0E032D06
	buffer_load_dword v24, s[20:23], 0 offen lds               // 000000003868: E0511000 80050018
	s_add_u32 m0, 0x100, s51                                   // 000000003870: 807C33FF 00000100
	v_mfma_f32_16x16x32_fp8_fp8 v[128:131], a[8:9], v[152:153], v[128:131]// 000000003878: D3F30080 0E033108
	v_mfma_f32_16x16x32_fp8_fp8 v[128:131], a[10:11], v[154:155], v[128:131]// 000000003880: D3F30080 0E03350A
	buffer_load_dwordx4 a[36:39], v32, s[92:95], 0 offen offset:1024// 000000003888: E05C1400 80972420
	v_mfma_f32_16x16x32_fp8_fp8 v[128:131], a[12:13], v[156:157], v[128:131]// 000000003890: D3F30080 0E03390C
	v_mfma_f32_16x16x32_fp8_fp8 v[128:131], a[14:15], v[158:159], v[128:131]// 000000003898: D3F30080 0E033D0E
	buffer_load_dword v25, s[20:23], 0 offen lds               // 0000000038A0: E0511000 80050019
	s_add_u32 m0, 0x200, s51                                   // 0000000038A8: 807C33FF 00000200
	v_mfma_f32_16x16x32_fp8_fp8 v[132:135], a[0:1], v[160:161], v[132:135]// 0000000038B0: D3F30084 0E134100
	v_mfma_f32_16x16x32_fp8_fp8 v[132:135], a[2:3], v[162:163], v[132:135]// 0000000038B8: D3F30084 0E134502
	buffer_load_dwordx4 a[40:43], v32, s[92:95], 0 offen offset:2048// 0000000038C0: E05C1800 80972820
	v_mfma_f32_16x16x32_fp8_fp8 v[132:135], a[4:5], v[164:165], v[132:135]// 0000000038C8: D3F30084 0E134904
	v_mfma_f32_16x16x32_fp8_fp8 v[132:135], a[6:7], v[166:167], v[132:135]// 0000000038D0: D3F30084 0E134D06
	buffer_load_dword v26, s[20:23], 0 offen lds               // 0000000038D8: E0511000 8005001A
	s_add_u32 m0, 0x300, s51                                   // 0000000038E0: 807C33FF 00000300
	v_mfma_f32_16x16x32_fp8_fp8 v[132:135], a[8:9], v[168:169], v[132:135]// 0000000038E8: D3F30084 0E135108
	v_mfma_f32_16x16x32_fp8_fp8 v[132:135], a[10:11], v[170:171], v[132:135]// 0000000038F0: D3F30084 0E13550A
	buffer_load_dwordx4 a[44:47], v32, s[92:95], 0 offen offset:3072// 0000000038F8: E05C1C00 80972C20
	v_mfma_f32_16x16x32_fp8_fp8 v[132:135], a[12:13], v[172:173], v[132:135]// 000000003900: D3F30084 0E13590C
	v_mfma_f32_16x16x32_fp8_fp8 v[132:135], a[14:15], v[174:175], v[132:135]// 000000003908: D3F30084 0E135D0E
	buffer_load_dword v27, s[20:23], 0 offen lds               // 000000003910: E0511000 8005001B
	s_add_u32 m0, 0x400, s51                                   // 000000003918: 807C33FF 00000400
	v_mfma_f32_16x16x32_fp8_fp8 v[136:139], a[16:17], v[144:145], v[136:139]// 000000003920: D3F30088 0E232110
	v_mfma_f32_16x16x32_fp8_fp8 v[136:139], a[18:19], v[146:147], v[136:139]// 000000003928: D3F30088 0E232512
	buffer_load_dwordx4 a[48:51], v33, s[92:95], 0 offen       // 000000003930: E05C1000 80973021
	v_mfma_f32_16x16x32_fp8_fp8 v[136:139], a[20:21], v[148:149], v[136:139]// 000000003938: D3F30088 0E232914
	v_mfma_f32_16x16x32_fp8_fp8 v[136:139], a[22:23], v[150:151], v[136:139]// 000000003940: D3F30088 0E232D16
	buffer_load_dword v28, s[20:23], 0 offen lds               // 000000003948: E0511000 8005001C
	s_add_u32 m0, 0x500, s51                                   // 000000003950: 807C33FF 00000500
	v_mfma_f32_16x16x32_fp8_fp8 v[136:139], a[24:25], v[152:153], v[136:139]// 000000003958: D3F30088 0E233118
	v_mfma_f32_16x16x32_fp8_fp8 v[136:139], a[26:27], v[154:155], v[136:139]// 000000003960: D3F30088 0E23351A
	buffer_load_dwordx4 a[52:55], v33, s[92:95], 0 offen offset:1024// 000000003968: E05C1400 80973421
	v_mfma_f32_16x16x32_fp8_fp8 v[136:139], a[28:29], v[156:157], v[136:139]// 000000003970: D3F30088 0E23391C
	v_mfma_f32_16x16x32_fp8_fp8 v[136:139], a[30:31], v[158:159], v[136:139]// 000000003978: D3F30088 0E233D1E
	buffer_load_dword v29, s[20:23], 0 offen lds               // 000000003980: E0511000 8005001D
	s_add_u32 m0, 0x600, s51                                   // 000000003988: 807C33FF 00000600
	v_mfma_f32_16x16x32_fp8_fp8 v[140:143], a[16:17], v[160:161], v[140:143]// 000000003990: D3F3008C 0E334110
	v_mfma_f32_16x16x32_fp8_fp8 v[140:143], a[18:19], v[162:163], v[140:143]// 000000003998: D3F3008C 0E334512
	buffer_load_dwordx4 a[56:59], v33, s[92:95], 0 offen offset:2048// 0000000039A0: E05C1800 80973821
	v_mfma_f32_16x16x32_fp8_fp8 v[140:143], a[20:21], v[164:165], v[140:143]// 0000000039A8: D3F3008C 0E334914
	v_mfma_f32_16x16x32_fp8_fp8 v[140:143], a[22:23], v[166:167], v[140:143]// 0000000039B0: D3F3008C 0E334D16
	buffer_load_dword v30, s[20:23], 0 offen lds               // 0000000039B8: E0511000 8005001E
	s_add_u32 m0, 0x700, s51                                   // 0000000039C0: 807C33FF 00000700
	v_mfma_f32_16x16x32_fp8_fp8 v[140:143], a[24:25], v[168:169], v[140:143]// 0000000039C8: D3F3008C 0E335118
	v_mfma_f32_16x16x32_fp8_fp8 v[140:143], a[26:27], v[170:171], v[140:143]// 0000000039D0: D3F3008C 0E33551A
	buffer_load_dwordx4 a[60:63], v33, s[92:95], 0 offen offset:3072// 0000000039D8: E05C1C00 80973C21
	v_mfma_f32_16x16x32_fp8_fp8 v[140:143], a[28:29], v[172:173], v[140:143]// 0000000039E0: D3F3008C 0E33591C
	v_mfma_f32_16x16x32_fp8_fp8 v[140:143], a[30:31], v[174:175], v[140:143]// 0000000039E8: D3F3008C 0E335D1E
	buffer_load_dword v31, s[20:23], 0 offen lds               // 0000000039F0: E0511000 8005001F
	s_add_u32 m0, 0, s50                                       // 0000000039F8: 807C3280
	s_waitcnt vmcnt(0)                                         // 0000000039FC: BF8C0F70
	s_barrier                                                  // 000000003A00: BF8A0000
	v_mfma_f32_16x16x32_fp8_fp8 v[64:67], a[32:33], v[144:145], v[64:67]// 000000003A04: D3F30040 0D032120
	v_mfma_f32_16x16x32_fp8_fp8 v[64:67], a[34:35], v[146:147], v[64:67]// 000000003A0C: D3F30040 0D032522
	buffer_load_dwordx4 a[0:3], v32, s[24:27], 0 offen         // 000000003A14: E05C1000 80860020
	v_mfma_f32_16x16x32_fp8_fp8 v[64:67], a[36:37], v[148:149], v[64:67]// 000000003A1C: D3F30040 0D032924
	v_mfma_f32_16x16x32_fp8_fp8 v[64:67], a[38:39], v[150:151], v[64:67]// 000000003A24: D3F30040 0D032D26
	ds_read_b128 v[176:179], v2 offset:8320                    // 000000003A2C: D9FE2080 B0000002
	v_mfma_f32_16x16x32_fp8_fp8 v[64:67], a[40:41], v[152:153], v[64:67]// 000000003A34: D3F30040 0D033128
	v_mfma_f32_16x16x32_fp8_fp8 v[64:67], a[42:43], v[154:155], v[64:67]// 000000003A3C: D3F30040 0D03352A
	buffer_load_dwordx4 a[4:7], v32, s[24:27], 0 offen offset:1024// 000000003A44: E05C1400 80860420
	v_mfma_f32_16x16x32_fp8_fp8 v[64:67], a[44:45], v[156:157], v[64:67]// 000000003A4C: D3F30040 0D03392C
	v_mfma_f32_16x16x32_fp8_fp8 v[64:67], a[46:47], v[158:159], v[64:67]// 000000003A54: D3F30040 0D033D2E
	ds_read_b128 v[180:183], v2 offset:8384                    // 000000003A5C: D9FE20C0 B4000002
	v_mfma_f32_16x16x32_fp8_fp8 v[68:71], a[32:33], v[160:161], v[68:71]// 000000003A64: D3F30044 0D134120
	v_mfma_f32_16x16x32_fp8_fp8 v[68:71], a[34:35], v[162:163], v[68:71]// 000000003A6C: D3F30044 0D134522
	buffer_load_dwordx4 a[8:11], v32, s[24:27], 0 offen offset:2048// 000000003A74: E05C1800 80860820
	v_mfma_f32_16x16x32_fp8_fp8 v[68:71], a[36:37], v[164:165], v[68:71]// 000000003A7C: D3F30044 0D134924
	v_mfma_f32_16x16x32_fp8_fp8 v[68:71], a[38:39], v[166:167], v[68:71]// 000000003A84: D3F30044 0D134D26
	ds_read_b128 v[184:187], v2 offset:8448                    // 000000003A8C: D9FE2100 B8000002
	v_mfma_f32_16x16x32_fp8_fp8 v[68:71], a[40:41], v[168:169], v[68:71]// 000000003A94: D3F30044 0D135128
	v_mfma_f32_16x16x32_fp8_fp8 v[68:71], a[42:43], v[170:171], v[68:71]// 000000003A9C: D3F30044 0D13552A
	buffer_load_dwordx4 a[12:15], v32, s[24:27], 0 offen offset:3072// 000000003AA4: E05C1C00 80860C20
	v_mfma_f32_16x16x32_fp8_fp8 v[68:71], a[44:45], v[172:173], v[68:71]// 000000003AAC: D3F30044 0D13592C
	v_mfma_f32_16x16x32_fp8_fp8 v[68:71], a[46:47], v[174:175], v[68:71]// 000000003AB4: D3F30044 0D135D2E
	ds_read_b128 v[188:191], v2 offset:8512                    // 000000003ABC: D9FE2140 BC000002
	v_mfma_f32_16x16x32_fp8_fp8 v[72:75], a[48:49], v[144:145], v[72:75]// 000000003AC4: D3F30048 0D232130
	v_mfma_f32_16x16x32_fp8_fp8 v[72:75], a[50:51], v[146:147], v[72:75]// 000000003ACC: D3F30048 0D232532
	buffer_load_dwordx4 a[16:19], v33, s[24:27], 0 offen       // 000000003AD4: E05C1000 80861021
	v_mfma_f32_16x16x32_fp8_fp8 v[72:75], a[52:53], v[148:149], v[72:75]// 000000003ADC: D3F30048 0D232934
	v_mfma_f32_16x16x32_fp8_fp8 v[72:75], a[54:55], v[150:151], v[72:75]// 000000003AE4: D3F30048 0D232D36
	ds_read_b128 v[192:195], v2 offset:9344                    // 000000003AEC: D9FE2480 C0000002
	v_mfma_f32_16x16x32_fp8_fp8 v[72:75], a[56:57], v[152:153], v[72:75]// 000000003AF4: D3F30048 0D233138
	v_mfma_f32_16x16x32_fp8_fp8 v[72:75], a[58:59], v[154:155], v[72:75]// 000000003AFC: D3F30048 0D23353A
	buffer_load_dwordx4 a[20:23], v33, s[24:27], 0 offen offset:1024// 000000003B04: E05C1400 80861421
	v_mfma_f32_16x16x32_fp8_fp8 v[72:75], a[60:61], v[156:157], v[72:75]// 000000003B0C: D3F30048 0D23393C
	v_mfma_f32_16x16x32_fp8_fp8 v[72:75], a[62:63], v[158:159], v[72:75]// 000000003B14: D3F30048 0D233D3E
	ds_read_b128 v[196:199], v2 offset:9408                    // 000000003B1C: D9FE24C0 C4000002
	v_mfma_f32_16x16x32_fp8_fp8 v[76:79], a[48:49], v[160:161], v[76:79]// 000000003B24: D3F3004C 0D334130
	v_mfma_f32_16x16x32_fp8_fp8 v[76:79], a[50:51], v[162:163], v[76:79]// 000000003B2C: D3F3004C 0D334532
	buffer_load_dwordx4 a[24:27], v33, s[24:27], 0 offen offset:2048// 000000003B34: E05C1800 80861821
	v_mfma_f32_16x16x32_fp8_fp8 v[76:79], a[52:53], v[164:165], v[76:79]// 000000003B3C: D3F3004C 0D334934
	v_mfma_f32_16x16x32_fp8_fp8 v[76:79], a[54:55], v[166:167], v[76:79]// 000000003B44: D3F3004C 0D334D36
	ds_read_b128 v[200:203], v2 offset:9472                    // 000000003B4C: D9FE2500 C8000002
	v_mfma_f32_16x16x32_fp8_fp8 v[76:79], a[56:57], v[168:169], v[76:79]// 000000003B54: D3F3004C 0D335138
	v_mfma_f32_16x16x32_fp8_fp8 v[76:79], a[58:59], v[170:171], v[76:79]// 000000003B5C: D3F3004C 0D33553A
	buffer_load_dwordx4 a[28:31], v33, s[24:27], 0 offen offset:3072// 000000003B64: E05C1C00 80861C21
	v_mfma_f32_16x16x32_fp8_fp8 v[76:79], a[60:61], v[172:173], v[76:79]// 000000003B6C: D3F3004C 0D33593C
	v_mfma_f32_16x16x32_fp8_fp8 v[76:79], a[62:63], v[174:175], v[76:79]// 000000003B74: D3F3004C 0D335D3E
	ds_read_b128 v[204:207], v2 offset:9536                    // 000000003B7C: D9FE2540 CC000002
	s_add_u32 s60, 0x200, s80                                  // 000000003B84: 803C50FF 00000200
	s_cmp_lt_u32 s60, s81                                      // 000000003B8C: BF0A513C
	s_cselect_b32 s57, s57, 0                                  // 000000003B90: 85398039
	s_add_u32 s60, 0x200, s80                                  // 000000003B94: 803C50FF 00000200
	s_cmp_lt_u32 s60, s81                                      // 000000003B9C: BF0A513C
	s_cselect_b32 s58, s58, 0                                  // 000000003BA0: 853A803A
	s_add_u32 s20, s57, s20                                    // 000000003BA4: 80141439
	s_addc_u32 s21, 0, s21                                     // 000000003BA8: 82151580
	s_add_u32 s24, s58, s24                                    // 000000003BAC: 8018183A
	s_addc_u32 s25, 0, s25                                     // 000000003BB0: 82191980
	s_add_u32 s92, s90, s92                                    // 000000003BB4: 805C5C5A
	s_addc_u32 s93, 0, s93                                     // 000000003BB8: 825D5D80
	s_addk_i32 s80, 0x100                                      // 000000003BBC: B7500100
	s_cmp_lt_i32 s80, s81                                      // 000000003BC0: BF045150
	s_cbranch_scc0 label_0457                                  // 000000003BC4: BF8400E5
	s_waitcnt vmcnt(0) lgkmcnt(0)                              // 000000003BC8: BF8C0070
	s_barrier                                                  // 000000003BCC: BF8A0000
	v_mfma_f32_16x16x32_fp8_fp8 v[128:131], a[0:1], v[176:177], v[128:131]// 000000003BD0: D3F30080 0E036100
	v_mfma_f32_16x16x32_fp8_fp8 v[128:131], a[2:3], v[178:179], v[128:131]// 000000003BD8: D3F30080 0E036502
	buffer_load_dwordx4 a[32:35], v32, s[92:95], 0 offen       // 000000003BE0: E05C1000 80972020
	v_mfma_f32_16x16x32_fp8_fp8 v[128:131], a[4:5], v[180:181], v[128:131]// 000000003BE8: D3F30080 0E036904
	v_mfma_f32_16x16x32_fp8_fp8 v[128:131], a[6:7], v[182:183], v[128:131]// 000000003BF0: D3F30080 0E036D06
	buffer_load_dword v24, s[20:23], 0 offen lds               // 000000003BF8: E0511000 80050018
	s_add_u32 m0, 0x100, s50                                   // 000000003C00: 807C32FF 00000100
	v_mfma_f32_16x16x32_fp8_fp8 v[128:131], a[8:9], v[184:185], v[128:131]// 000000003C08: D3F30080 0E037108
	v_mfma_f32_16x16x32_fp8_fp8 v[128:131], a[10:11], v[186:187], v[128:131]// 000000003C10: D3F30080 0E03750A
	buffer_load_dwordx4 a[36:39], v32, s[92:95], 0 offen offset:1024// 000000003C18: E05C1400 80972420
	v_mfma_f32_16x16x32_fp8_fp8 v[128:131], a[12:13], v[188:189], v[128:131]// 000000003C20: D3F30080 0E03790C
	v_mfma_f32_16x16x32_fp8_fp8 v[128:131], a[14:15], v[190:191], v[128:131]// 000000003C28: D3F30080 0E037D0E
	buffer_load_dword v25, s[20:23], 0 offen lds               // 000000003C30: E0511000 80050019
	s_add_u32 m0, 0x200, s50                                   // 000000003C38: 807C32FF 00000200
	v_mfma_f32_16x16x32_fp8_fp8 v[132:135], a[0:1], v[192:193], v[132:135]// 000000003C40: D3F30084 0E138100
	v_mfma_f32_16x16x32_fp8_fp8 v[132:135], a[2:3], v[194:195], v[132:135]// 000000003C48: D3F30084 0E138502
	buffer_load_dwordx4 a[40:43], v32, s[92:95], 0 offen offset:2048// 000000003C50: E05C1800 80972820
	v_mfma_f32_16x16x32_fp8_fp8 v[132:135], a[4:5], v[196:197], v[132:135]// 000000003C58: D3F30084 0E138904
	v_mfma_f32_16x16x32_fp8_fp8 v[132:135], a[6:7], v[198:199], v[132:135]// 000000003C60: D3F30084 0E138D06
	buffer_load_dword v26, s[20:23], 0 offen lds               // 000000003C68: E0511000 8005001A
	s_add_u32 m0, 0x300, s50                                   // 000000003C70: 807C32FF 00000300
	v_mfma_f32_16x16x32_fp8_fp8 v[132:135], a[8:9], v[200:201], v[132:135]// 000000003C78: D3F30084 0E139108
	v_mfma_f32_16x16x32_fp8_fp8 v[132:135], a[10:11], v[202:203], v[132:135]// 000000003C80: D3F30084 0E13950A
	buffer_load_dwordx4 a[44:47], v32, s[92:95], 0 offen offset:3072// 000000003C88: E05C1C00 80972C20
	v_mfma_f32_16x16x32_fp8_fp8 v[132:135], a[12:13], v[204:205], v[132:135]// 000000003C90: D3F30084 0E13990C
	v_mfma_f32_16x16x32_fp8_fp8 v[132:135], a[14:15], v[206:207], v[132:135]// 000000003C98: D3F30084 0E139D0E
	buffer_load_dword v27, s[20:23], 0 offen lds               // 000000003CA0: E0511000 8005001B
	s_add_u32 m0, 0x400, s50                                   // 000000003CA8: 807C32FF 00000400
	v_mfma_f32_16x16x32_fp8_fp8 v[136:139], a[16:17], v[176:177], v[136:139]// 000000003CB0: D3F30088 0E236110
	v_mfma_f32_16x16x32_fp8_fp8 v[136:139], a[18:19], v[178:179], v[136:139]// 000000003CB8: D3F30088 0E236512
	buffer_load_dwordx4 a[48:51], v33, s[92:95], 0 offen       // 000000003CC0: E05C1000 80973021
	v_mfma_f32_16x16x32_fp8_fp8 v[136:139], a[20:21], v[180:181], v[136:139]// 000000003CC8: D3F30088 0E236914
	v_mfma_f32_16x16x32_fp8_fp8 v[136:139], a[22:23], v[182:183], v[136:139]// 000000003CD0: D3F30088 0E236D16
	buffer_load_dword v28, s[20:23], 0 offen lds               // 000000003CD8: E0511000 8005001C
	s_add_u32 m0, 0x500, s50                                   // 000000003CE0: 807C32FF 00000500
	v_mfma_f32_16x16x32_fp8_fp8 v[136:139], a[24:25], v[184:185], v[136:139]// 000000003CE8: D3F30088 0E237118
	v_mfma_f32_16x16x32_fp8_fp8 v[136:139], a[26:27], v[186:187], v[136:139]// 000000003CF0: D3F30088 0E23751A
	buffer_load_dwordx4 a[52:55], v33, s[92:95], 0 offen offset:1024// 000000003CF8: E05C1400 80973421
	v_mfma_f32_16x16x32_fp8_fp8 v[136:139], a[28:29], v[188:189], v[136:139]// 000000003D00: D3F30088 0E23791C
	v_mfma_f32_16x16x32_fp8_fp8 v[136:139], a[30:31], v[190:191], v[136:139]// 000000003D08: D3F30088 0E237D1E
	buffer_load_dword v29, s[20:23], 0 offen lds               // 000000003D10: E0511000 8005001D
	s_add_u32 m0, 0x600, s50                                   // 000000003D18: 807C32FF 00000600
	v_mfma_f32_16x16x32_fp8_fp8 v[140:143], a[16:17], v[192:193], v[140:143]// 000000003D20: D3F3008C 0E338110
	v_mfma_f32_16x16x32_fp8_fp8 v[140:143], a[18:19], v[194:195], v[140:143]// 000000003D28: D3F3008C 0E338512
	buffer_load_dwordx4 a[56:59], v33, s[92:95], 0 offen offset:2048// 000000003D30: E05C1800 80973821
	v_mfma_f32_16x16x32_fp8_fp8 v[140:143], a[20:21], v[196:197], v[140:143]// 000000003D38: D3F3008C 0E338914
	v_mfma_f32_16x16x32_fp8_fp8 v[140:143], a[22:23], v[198:199], v[140:143]// 000000003D40: D3F3008C 0E338D16
	buffer_load_dword v30, s[20:23], 0 offen lds               // 000000003D48: E0511000 8005001E
	s_add_u32 m0, 0x700, s50                                   // 000000003D50: 807C32FF 00000700
	v_mfma_f32_16x16x32_fp8_fp8 v[140:143], a[24:25], v[200:201], v[140:143]// 000000003D58: D3F3008C 0E339118
	v_mfma_f32_16x16x32_fp8_fp8 v[140:143], a[26:27], v[202:203], v[140:143]// 000000003D60: D3F3008C 0E33951A
	buffer_load_dwordx4 a[60:63], v33, s[92:95], 0 offen offset:3072// 000000003D68: E05C1C00 80973C21
	v_mfma_f32_16x16x32_fp8_fp8 v[140:143], a[28:29], v[204:205], v[140:143]// 000000003D70: D3F3008C 0E33991C
	v_mfma_f32_16x16x32_fp8_fp8 v[140:143], a[30:31], v[206:207], v[140:143]// 000000003D78: D3F3008C 0E339D1E
	buffer_load_dword v31, s[20:23], 0 offen lds               // 000000003D80: E0511000 8005001F
	s_add_u32 m0, 0, s51                                       // 000000003D88: 807C3380
	s_waitcnt vmcnt(0)                                         // 000000003D8C: BF8C0F70
	s_barrier                                                  // 000000003D90: BF8A0000
	v_mfma_f32_16x16x32_fp8_fp8 v[64:67], a[32:33], v[176:177], v[64:67]// 000000003D94: D3F30040 0D036120
	v_mfma_f32_16x16x32_fp8_fp8 v[64:67], a[34:35], v[178:179], v[64:67]// 000000003D9C: D3F30040 0D036522
	buffer_load_dwordx4 a[0:3], v32, s[24:27], 0 offen         // 000000003DA4: E05C1000 80860020
	v_mfma_f32_16x16x32_fp8_fp8 v[64:67], a[36:37], v[180:181], v[64:67]// 000000003DAC: D3F30040 0D036924
	v_mfma_f32_16x16x32_fp8_fp8 v[64:67], a[38:39], v[182:183], v[64:67]// 000000003DB4: D3F30040 0D036D26
	ds_read_b128 v[144:147], v2                                // 000000003DBC: D9FE0000 90000002
	v_mfma_f32_16x16x32_fp8_fp8 v[64:67], a[40:41], v[184:185], v[64:67]// 000000003DC4: D3F30040 0D037128
	v_mfma_f32_16x16x32_fp8_fp8 v[64:67], a[42:43], v[186:187], v[64:67]// 000000003DCC: D3F30040 0D03752A
	buffer_load_dwordx4 a[4:7], v32, s[24:27], 0 offen offset:1024// 000000003DD4: E05C1400 80860420
	v_mfma_f32_16x16x32_fp8_fp8 v[64:67], a[44:45], v[188:189], v[64:67]// 000000003DDC: D3F30040 0D03792C
	v_mfma_f32_16x16x32_fp8_fp8 v[64:67], a[46:47], v[190:191], v[64:67]// 000000003DE4: D3F30040 0D037D2E
	ds_read_b128 v[148:151], v2 offset:64                      // 000000003DEC: D9FE0040 94000002
	v_mfma_f32_16x16x32_fp8_fp8 v[68:71], a[32:33], v[192:193], v[68:71]// 000000003DF4: D3F30044 0D138120
	v_mfma_f32_16x16x32_fp8_fp8 v[68:71], a[34:35], v[194:195], v[68:71]// 000000003DFC: D3F30044 0D138522
	buffer_load_dwordx4 a[8:11], v32, s[24:27], 0 offen offset:2048// 000000003E04: E05C1800 80860820
	v_mfma_f32_16x16x32_fp8_fp8 v[68:71], a[36:37], v[196:197], v[68:71]// 000000003E0C: D3F30044 0D138924
	v_mfma_f32_16x16x32_fp8_fp8 v[68:71], a[38:39], v[198:199], v[68:71]// 000000003E14: D3F30044 0D138D26
	ds_read_b128 v[152:155], v2 offset:128                     // 000000003E1C: D9FE0080 98000002
	v_mfma_f32_16x16x32_fp8_fp8 v[68:71], a[40:41], v[200:201], v[68:71]// 000000003E24: D3F30044 0D139128
	v_mfma_f32_16x16x32_fp8_fp8 v[68:71], a[42:43], v[202:203], v[68:71]// 000000003E2C: D3F30044 0D13952A
	buffer_load_dwordx4 a[12:15], v32, s[24:27], 0 offen offset:3072// 000000003E34: E05C1C00 80860C20
	v_mfma_f32_16x16x32_fp8_fp8 v[68:71], a[44:45], v[204:205], v[68:71]// 000000003E3C: D3F30044 0D13992C
	v_mfma_f32_16x16x32_fp8_fp8 v[68:71], a[46:47], v[206:207], v[68:71]// 000000003E44: D3F30044 0D139D2E
	ds_read_b128 v[156:159], v2 offset:192                     // 000000003E4C: D9FE00C0 9C000002
	v_mfma_f32_16x16x32_fp8_fp8 v[72:75], a[48:49], v[176:177], v[72:75]// 000000003E54: D3F30048 0D236130
	v_mfma_f32_16x16x32_fp8_fp8 v[72:75], a[50:51], v[178:179], v[72:75]// 000000003E5C: D3F30048 0D236532
	buffer_load_dwordx4 a[16:19], v33, s[24:27], 0 offen       // 000000003E64: E05C1000 80861021
	v_mfma_f32_16x16x32_fp8_fp8 v[72:75], a[52:53], v[180:181], v[72:75]// 000000003E6C: D3F30048 0D236934
	v_mfma_f32_16x16x32_fp8_fp8 v[72:75], a[54:55], v[182:183], v[72:75]// 000000003E74: D3F30048 0D236D36
	ds_read_b128 v[160:163], v2 offset:1024                    // 000000003E7C: D9FE0400 A0000002
	v_mfma_f32_16x16x32_fp8_fp8 v[72:75], a[56:57], v[184:185], v[72:75]// 000000003E84: D3F30048 0D237138
	v_mfma_f32_16x16x32_fp8_fp8 v[72:75], a[58:59], v[186:187], v[72:75]// 000000003E8C: D3F30048 0D23753A
	buffer_load_dwordx4 a[20:23], v33, s[24:27], 0 offen offset:1024// 000000003E94: E05C1400 80861421
	v_mfma_f32_16x16x32_fp8_fp8 v[72:75], a[60:61], v[188:189], v[72:75]// 000000003E9C: D3F30048 0D23793C
	v_mfma_f32_16x16x32_fp8_fp8 v[72:75], a[62:63], v[190:191], v[72:75]// 000000003EA4: D3F30048 0D237D3E
	ds_read_b128 v[164:167], v2 offset:1088                    // 000000003EAC: D9FE0440 A4000002
	v_mfma_f32_16x16x32_fp8_fp8 v[76:79], a[48:49], v[192:193], v[76:79]// 000000003EB4: D3F3004C 0D338130
	v_mfma_f32_16x16x32_fp8_fp8 v[76:79], a[50:51], v[194:195], v[76:79]// 000000003EBC: D3F3004C 0D338532
	buffer_load_dwordx4 a[24:27], v33, s[24:27], 0 offen offset:2048// 000000003EC4: E05C1800 80861821
	v_mfma_f32_16x16x32_fp8_fp8 v[76:79], a[52:53], v[196:197], v[76:79]// 000000003ECC: D3F3004C 0D338934
	v_mfma_f32_16x16x32_fp8_fp8 v[76:79], a[54:55], v[198:199], v[76:79]// 000000003ED4: D3F3004C 0D338D36
	ds_read_b128 v[168:171], v2 offset:1152                    // 000000003EDC: D9FE0480 A8000002
	v_mfma_f32_16x16x32_fp8_fp8 v[76:79], a[56:57], v[200:201], v[76:79]// 000000003EE4: D3F3004C 0D339138
	v_mfma_f32_16x16x32_fp8_fp8 v[76:79], a[58:59], v[202:203], v[76:79]// 000000003EEC: D3F3004C 0D33953A
	buffer_load_dwordx4 a[28:31], v33, s[24:27], 0 offen offset:3072// 000000003EF4: E05C1C00 80861C21
	v_mfma_f32_16x16x32_fp8_fp8 v[76:79], a[60:61], v[204:205], v[76:79]// 000000003EFC: D3F3004C 0D33993C
	v_mfma_f32_16x16x32_fp8_fp8 v[76:79], a[62:63], v[206:207], v[76:79]// 000000003F04: D3F3004C 0D339D3E
	ds_read_b128 v[172:175], v2 offset:1216                    // 000000003F0C: D9FE04C0 AC000002
	s_add_u32 s60, 0x200, s80                                  // 000000003F14: 803C50FF 00000200
	s_cmp_lt_u32 s60, s81                                      // 000000003F1C: BF0A513C
	s_cselect_b32 s57, s57, 0                                  // 000000003F20: 85398039
	s_add_u32 s60, 0x200, s80                                  // 000000003F24: 803C50FF 00000200
	s_cmp_lt_u32 s60, s81                                      // 000000003F2C: BF0A513C
	s_cselect_b32 s58, s58, 0                                  // 000000003F30: 853A803A
	s_add_u32 s20, s57, s20                                    // 000000003F34: 80141439
	s_addc_u32 s21, 0, s21                                     // 000000003F38: 82151580
	s_add_u32 s24, s58, s24                                    // 000000003F3C: 8018183A
	s_addc_u32 s25, 0, s25                                     // 000000003F40: 82191980
	s_add_u32 s92, s90, s92                                    // 000000003F44: 805C5C5A
	s_addc_u32 s93, 0, s93                                     // 000000003F48: 825D5D80
	s_addk_i32 s80, 0x100                                      // 000000003F4C: B7500100
	s_cmp_lt_i32 s80, s81                                      // 000000003F50: BF045150
	s_cbranch_scc0 label_0457                                  // 000000003F54: BF840001
	s_branch label_028E                                        // 000000003F58: BF82FE37

0000000000003f5c <label_0457>:
	s_mov_b32 s36, -1                                          // 000000003F5C: BEA400C1
	s_mov_b32 s37, -1                                          // 000000003F60: BEA500C1
	s_mov_b64 s[60:61], 0                                      // 000000003F64: BEBC0180
	s_cmp_lt_u32 s82, s66                                      // 000000003F68: BF0A4252
	s_cselect_b64 s[20:21], s[36:37], s[60:61]                 // 000000003F6C: 85943C24
	s_cmp_lt_u32 s83, s66                                      // 000000003F70: BF0A4253
	s_cselect_b64 s[22:23], s[36:37], s[60:61]                 // 000000003F74: 85963C24
	s_cmp_lt_u32 s84, s66                                      // 000000003F78: BF0A4254
	s_cselect_b64 s[24:25], s[36:37], s[60:61]                 // 000000003F7C: 85983C24
	s_cmp_lt_u32 s85, s66                                      // 000000003F80: BF0A4255
	s_cselect_b64 s[26:27], s[36:37], s[60:61]                 // 000000003F84: 859A3C24
	s_cmp_lt_u32 s86, s66                                      // 000000003F88: BF0A4256
	s_cselect_b64 s[28:29], s[36:37], s[60:61]                 // 000000003F8C: 859C3C24
	s_cmp_lt_u32 s87, s66                                      // 000000003F90: BF0A4257
	s_cselect_b64 s[30:31], s[36:37], s[60:61]                 // 000000003F94: 859E3C24
	s_cmp_lt_u32 s88, s66                                      // 000000003F98: BF0A4258
	s_cselect_b64 s[32:33], s[36:37], s[60:61]                 // 000000003F9C: 85A03C24
	s_cmp_lt_u32 s89, s66                                      // 000000003FA0: BF0A4259
	s_cselect_b64 s[34:35], s[36:37], s[60:61]                 // 000000003FA4: 85A23C24
	v_mul_f32_e32 v128, v13, v128                              // 000000003FA8: 0B01010D
	v_mul_f32_e32 v129, v13, v129                              // 000000003FAC: 0B03030D
	v_mul_f32_e32 v130, v13, v130                              // 000000003FB0: 0B05050D
	v_mul_f32_e32 v131, v13, v131                              // 000000003FB4: 0B07070D
	v_mul_f32_dpp v128, v15, v128 row_newbcast:0 row_mask:0xf bank_mask:0xf// 000000003FB8: 0B0100FA FF01500F
	v_mul_f32_dpp v129, v15, v129 row_newbcast:1 row_mask:0xf bank_mask:0xf// 000000003FC0: 0B0302FA FF01510F
	v_mul_f32_dpp v130, v15, v130 row_newbcast:2 row_mask:0xf bank_mask:0xf// 000000003FC8: 0B0504FA FF01520F
	v_mul_f32_dpp v131, v15, v131 row_newbcast:3 row_mask:0xf bank_mask:0xf// 000000003FD0: 0B0706FA FF01530F
	v_mul_f32_e32 v132, v14, v132                              // 000000003FD8: 0B09090E
	v_mul_f32_e32 v133, v14, v133                              // 000000003FDC: 0B0B0B0E
	v_mul_f32_e32 v134, v14, v134                              // 000000003FE0: 0B0D0D0E
	v_mul_f32_e32 v135, v14, v135                              // 000000003FE4: 0B0F0F0E
	v_mul_f32_dpp v132, v15, v132 row_newbcast:0 row_mask:0xf bank_mask:0xf// 000000003FE8: 0B0908FA FF01500F
	v_mul_f32_dpp v133, v15, v133 row_newbcast:1 row_mask:0xf bank_mask:0xf// 000000003FF0: 0B0B0AFA FF01510F
	v_mul_f32_dpp v134, v15, v134 row_newbcast:2 row_mask:0xf bank_mask:0xf// 000000003FF8: 0B0D0CFA FF01520F
	v_mul_f32_dpp v135, v15, v135 row_newbcast:3 row_mask:0xf bank_mask:0xf// 000000004000: 0B0F0EFA FF01530F
	v_mul_f32_e32 v136, v13, v136                              // 000000004008: 0B11110D
	v_mul_f32_e32 v137, v13, v137                              // 00000000400C: 0B13130D
	v_mul_f32_e32 v138, v13, v138                              // 000000004010: 0B15150D
	v_mul_f32_e32 v139, v13, v139                              // 000000004014: 0B17170D
	v_mul_f32_dpp v136, v15, v136 row_newbcast:4 row_mask:0xf bank_mask:0xf// 000000004018: 0B1110FA FF01540F
	v_mul_f32_dpp v137, v15, v137 row_newbcast:5 row_mask:0xf bank_mask:0xf// 000000004020: 0B1312FA FF01550F
	v_mul_f32_dpp v138, v15, v138 row_newbcast:6 row_mask:0xf bank_mask:0xf// 000000004028: 0B1514FA FF01560F
	v_mul_f32_dpp v139, v15, v139 row_newbcast:7 row_mask:0xf bank_mask:0xf// 000000004030: 0B1716FA FF01570F
	v_mul_f32_e32 v140, v14, v140                              // 000000004038: 0B19190E
	v_mul_f32_e32 v141, v14, v141                              // 00000000403C: 0B1B1B0E
	v_mul_f32_e32 v142, v14, v142                              // 000000004040: 0B1D1D0E
	v_mul_f32_e32 v143, v14, v143                              // 000000004044: 0B1F1F0E
	v_mul_f32_dpp v140, v15, v140 row_newbcast:4 row_mask:0xf bank_mask:0xf// 000000004048: 0B1918FA FF01540F
	v_mul_f32_dpp v141, v15, v141 row_newbcast:5 row_mask:0xf bank_mask:0xf// 000000004050: 0B1B1AFA FF01550F
	v_mul_f32_dpp v142, v15, v142 row_newbcast:6 row_mask:0xf bank_mask:0xf// 000000004058: 0B1D1CFA FF01560F
	v_mul_f32_dpp v143, v15, v143 row_newbcast:7 row_mask:0xf bank_mask:0xf// 000000004060: 0B1F1EFA FF01570F
	v_mul_f32_e32 v64, v13, v64                                // 000000004068: 0A80810D
	v_mul_f32_e32 v65, v13, v65                                // 00000000406C: 0A82830D
	v_mul_f32_e32 v66, v13, v66                                // 000000004070: 0A84850D
	v_mul_f32_e32 v67, v13, v67                                // 000000004074: 0A86870D
	v_mul_f32_dpp v64, v42, v64 row_newbcast:0 row_mask:0xf bank_mask:0xf// 000000004078: 0A8080FA FF01502A
	v_mul_f32_dpp v65, v42, v65 row_newbcast:1 row_mask:0xf bank_mask:0xf// 000000004080: 0A8282FA FF01512A
	v_mul_f32_dpp v66, v42, v66 row_newbcast:2 row_mask:0xf bank_mask:0xf// 000000004088: 0A8484FA FF01522A
	v_mul_f32_dpp v67, v42, v67 row_newbcast:3 row_mask:0xf bank_mask:0xf// 000000004090: 0A8686FA FF01532A
	v_mul_f32_e32 v68, v14, v68                                // 000000004098: 0A88890E
	v_mul_f32_e32 v69, v14, v69                                // 00000000409C: 0A8A8B0E
	v_mul_f32_e32 v70, v14, v70                                // 0000000040A0: 0A8C8D0E
	v_mul_f32_e32 v71, v14, v71                                // 0000000040A4: 0A8E8F0E
	v_mul_f32_dpp v68, v42, v68 row_newbcast:0 row_mask:0xf bank_mask:0xf// 0000000040A8: 0A8888FA FF01502A
	v_mul_f32_dpp v69, v42, v69 row_newbcast:1 row_mask:0xf bank_mask:0xf// 0000000040B0: 0A8A8AFA FF01512A
	v_mul_f32_dpp v70, v42, v70 row_newbcast:2 row_mask:0xf bank_mask:0xf// 0000000040B8: 0A8C8CFA FF01522A
	v_mul_f32_dpp v71, v42, v71 row_newbcast:3 row_mask:0xf bank_mask:0xf// 0000000040C0: 0A8E8EFA FF01532A
	v_mul_f32_e32 v72, v13, v72                                // 0000000040C8: 0A90910D
	v_mul_f32_e32 v73, v13, v73                                // 0000000040CC: 0A92930D
	v_mul_f32_e32 v74, v13, v74                                // 0000000040D0: 0A94950D
	v_mul_f32_e32 v75, v13, v75                                // 0000000040D4: 0A96970D
	v_mul_f32_dpp v72, v42, v72 row_newbcast:4 row_mask:0xf bank_mask:0xf// 0000000040D8: 0A9090FA FF01542A
	v_mul_f32_dpp v73, v42, v73 row_newbcast:5 row_mask:0xf bank_mask:0xf// 0000000040E0: 0A9292FA FF01552A
	v_mul_f32_dpp v74, v42, v74 row_newbcast:6 row_mask:0xf bank_mask:0xf// 0000000040E8: 0A9494FA FF01562A
	v_mul_f32_dpp v75, v42, v75 row_newbcast:7 row_mask:0xf bank_mask:0xf// 0000000040F0: 0A9696FA FF01572A
	v_mul_f32_e32 v76, v14, v76                                // 0000000040F8: 0A98990E
	v_mul_f32_e32 v77, v14, v77                                // 0000000040FC: 0A9A9B0E
	v_mul_f32_e32 v78, v14, v78                                // 000000004100: 0A9C9D0E
	v_mul_f32_e32 v79, v14, v79                                // 000000004104: 0A9E9F0E
	v_mul_f32_dpp v76, v42, v76 row_newbcast:4 row_mask:0xf bank_mask:0xf// 000000004108: 0A9898FA FF01542A
	v_mul_f32_dpp v77, v42, v77 row_newbcast:5 row_mask:0xf bank_mask:0xf// 000000004110: 0A9A9AFA FF01552A
	v_mul_f32_dpp v78, v42, v78 row_newbcast:6 row_mask:0xf bank_mask:0xf// 000000004118: 0A9C9CFA FF01562A
	v_mul_f32_dpp v79, v42, v79 row_newbcast:7 row_mask:0xf bank_mask:0xf// 000000004120: 0A9E9EFA FF01572A
	s_waitcnt vmcnt(4)                                         // 000000004128: BF8C0F74
	buffer_load_dwordx4 a[0:3], v34, s[12:15], 0 offen         // 00000000412C: E05C1000 80830022
	v_mul_f32_e32 v44, v128, v128                              // 000000004134: 0A590180
	v_mul_f32_e32 v45, v129, v129                              // 000000004138: 0A5B0381
	v_mul_f32_e32 v46, v130, v130                              // 00000000413C: 0A5D0582
	v_mul_f32_e32 v47, v131, v131                              // 000000004140: 0A5F0783
	v_fma_f32 v44, v44, s77, v1                                // 000000004144: D1CB002C 04049B2C
	v_fma_f32 v45, v45, s77, v1                                // 00000000414C: D1CB002D 04049B2D
	v_fma_f32 v46, v46, s77, v1                                // 000000004154: D1CB002E 04049B2E
	v_fma_f32 v47, v47, s77, v1                                // 00000000415C: D1CB002F 04049B2F
	v_mul_f32_e32 v44, v44, v128                               // 000000004164: 0A59012C
	v_mul_f32_e32 v45, v45, v129                               // 000000004168: 0A5B032D
	v_mul_f32_e32 v46, v46, v130                               // 00000000416C: 0A5D052E
	v_mul_f32_e32 v47, v47, v131                               // 000000004170: 0A5F072F
	v_mul_f32_e64 v44, v44, s6                                 // 000000004174: D105002C 00000D2C
	v_mul_f32_e64 v45, v45, s6                                 // 00000000417C: D105002D 00000D2D
	v_mul_f32_e64 v46, v46, s6                                 // 000000004184: D105002E 00000D2E
	v_mul_f32_e64 v47, v47, s6                                 // 00000000418C: D105002F 00000D2F
	v_exp_f32_e32 v44, v44                                     // 000000004194: 7E58412C
	v_exp_f32_e32 v45, v45                                     // 000000004198: 7E5A412D
	v_exp_f32_e32 v46, v46                                     // 00000000419C: 7E5C412E
	v_exp_f32_e32 v47, v47                                     // 0000000041A0: 7E5E412F
	buffer_load_dwordx4 a[4:7], v35, s[12:15], 0 offen         // 0000000041A4: E05C1000 80830423
	v_add_f32_e64 v44, v44, 1.0                                // 0000000041AC: D101002C 0001E52C
	v_add_f32_e64 v45, v45, 1.0                                // 0000000041B4: D101002D 0001E52D
	v_add_f32_e64 v46, v46, 1.0                                // 0000000041BC: D101002E 0001E52E
	v_add_f32_e64 v47, v47, 1.0                                // 0000000041C4: D101002F 0001E52F
	v_rcp_f32_e32 v44, v44                                     // 0000000041CC: 7E58452C
	v_rcp_f32_e32 v45, v45                                     // 0000000041D0: 7E5A452D
	v_rcp_f32_e32 v46, v46                                     // 0000000041D4: 7E5C452E
	v_rcp_f32_e32 v47, v47                                     // 0000000041D8: 7E5E452F
	v_mul_f32_e32 v128, v128, v44                              // 0000000041DC: 0B005980
	v_mul_f32_e32 v129, v129, v45                              // 0000000041E0: 0B025B81
	v_mul_f32_e32 v130, v130, v46                              // 0000000041E4: 0B045D82
	v_mul_f32_e32 v131, v131, v47                              // 0000000041E8: 0B065F83
	v_mul_f32_e32 v128, v128, v64                              // 0000000041EC: 0B008180
	v_mul_f32_e32 v129, v129, v65                              // 0000000041F0: 0B028381
	v_mul_f32_e32 v130, v130, v66                              // 0000000041F4: 0B048582
	v_mul_f32_e32 v131, v131, v67                              // 0000000041F8: 0B068783
	buffer_load_dwordx4 a[8:11], v36, s[12:15], 0 offen        // 0000000041FC: E05C1000 80830824
	v_mul_f32_e32 v44, v132, v132                              // 000000004204: 0A590984
	v_mul_f32_e32 v45, v133, v133                              // 000000004208: 0A5B0B85
	v_mul_f32_e32 v46, v134, v134                              // 00000000420C: 0A5D0D86
	v_mul_f32_e32 v47, v135, v135                              // 000000004210: 0A5F0F87
	v_fma_f32 v44, v44, s77, v1                                // 000000004214: D1CB002C 04049B2C
	v_fma_f32 v45, v45, s77, v1                                // 00000000421C: D1CB002D 04049B2D
	v_fma_f32 v46, v46, s77, v1                                // 000000004224: D1CB002E 04049B2E
	v_fma_f32 v47, v47, s77, v1                                // 00000000422C: D1CB002F 04049B2F
	v_mul_f32_e32 v44, v44, v132                               // 000000004234: 0A59092C
	v_mul_f32_e32 v45, v45, v133                               // 000000004238: 0A5B0B2D
	v_mul_f32_e32 v46, v46, v134                               // 00000000423C: 0A5D0D2E
	v_mul_f32_e32 v47, v47, v135                               // 000000004240: 0A5F0F2F
	v_mul_f32_e64 v44, v44, s6                                 // 000000004244: D105002C 00000D2C
	v_mul_f32_e64 v45, v45, s6                                 // 00000000424C: D105002D 00000D2D
	v_mul_f32_e64 v46, v46, s6                                 // 000000004254: D105002E 00000D2E
	v_mul_f32_e64 v47, v47, s6                                 // 00000000425C: D105002F 00000D2F
	v_exp_f32_e32 v44, v44                                     // 000000004264: 7E58412C
	v_exp_f32_e32 v45, v45                                     // 000000004268: 7E5A412D
	v_exp_f32_e32 v46, v46                                     // 00000000426C: 7E5C412E
	v_exp_f32_e32 v47, v47                                     // 000000004270: 7E5E412F
	buffer_load_dwordx4 a[12:15], v37, s[12:15], 0 offen       // 000000004274: E05C1000 80830C25
	s_add_u32 s12, s78, s12                                    // 00000000427C: 800C0C4E
	s_addc_u32 s13, 0, s13                                     // 000000004280: 820D0D80
	v_add_f32_e64 v44, v44, 1.0                                // 000000004284: D101002C 0001E52C
	v_add_f32_e64 v45, v45, 1.0                                // 00000000428C: D101002D 0001E52D
	v_add_f32_e64 v46, v46, 1.0                                // 000000004294: D101002E 0001E52E
	v_add_f32_e64 v47, v47, 1.0                                // 00000000429C: D101002F 0001E52F
	v_rcp_f32_e32 v44, v44                                     // 0000000042A4: 7E58452C
	v_rcp_f32_e32 v45, v45                                     // 0000000042A8: 7E5A452D
	v_rcp_f32_e32 v46, v46                                     // 0000000042AC: 7E5C452E
	v_rcp_f32_e32 v47, v47                                     // 0000000042B0: 7E5E452F
	v_mul_f32_e32 v132, v132, v44                              // 0000000042B4: 0B085984
	v_mul_f32_e32 v133, v133, v45                              // 0000000042B8: 0B0A5B85
	v_mul_f32_e32 v134, v134, v46                              // 0000000042BC: 0B0C5D86
	v_mul_f32_e32 v135, v135, v47                              // 0000000042C0: 0B0E5F87
	v_mul_f32_e32 v132, v132, v68                              // 0000000042C4: 0B088984
	v_mul_f32_e32 v133, v133, v69                              // 0000000042C8: 0B0A8B85
	v_mul_f32_e32 v134, v134, v70                              // 0000000042CC: 0B0C8D86
	v_mul_f32_e32 v135, v135, v71                              // 0000000042D0: 0B0E8F87
	s_waitcnt vmcnt(4)                                         // 0000000042D4: BF8C0F74
	buffer_load_dwordx4 a[16:19], v34, s[12:15], 0 offen       // 0000000042D8: E05C1000 80831022
	v_mul_f32_e32 v44, v136, v136                              // 0000000042E0: 0A591188
	v_mul_f32_e32 v45, v137, v137                              // 0000000042E4: 0A5B1389
	v_mul_f32_e32 v46, v138, v138                              // 0000000042E8: 0A5D158A
	v_mul_f32_e32 v47, v139, v139                              // 0000000042EC: 0A5F178B
	v_fma_f32 v44, v44, s77, v1                                // 0000000042F0: D1CB002C 04049B2C
	v_fma_f32 v45, v45, s77, v1                                // 0000000042F8: D1CB002D 04049B2D
	v_fma_f32 v46, v46, s77, v1                                // 000000004300: D1CB002E 04049B2E
	v_fma_f32 v47, v47, s77, v1                                // 000000004308: D1CB002F 04049B2F
	v_mul_f32_e32 v44, v44, v136                               // 000000004310: 0A59112C
	v_mul_f32_e32 v45, v45, v137                               // 000000004314: 0A5B132D
	v_mul_f32_e32 v46, v46, v138                               // 000000004318: 0A5D152E
	v_mul_f32_e32 v47, v47, v139                               // 00000000431C: 0A5F172F
	v_mul_f32_e64 v44, v44, s6                                 // 000000004320: D105002C 00000D2C
	v_mul_f32_e64 v45, v45, s6                                 // 000000004328: D105002D 00000D2D
	v_mul_f32_e64 v46, v46, s6                                 // 000000004330: D105002E 00000D2E
	v_mul_f32_e64 v47, v47, s6                                 // 000000004338: D105002F 00000D2F
	v_exp_f32_e32 v44, v44                                     // 000000004340: 7E58412C
	v_exp_f32_e32 v45, v45                                     // 000000004344: 7E5A412D
	v_exp_f32_e32 v46, v46                                     // 000000004348: 7E5C412E
	v_exp_f32_e32 v47, v47                                     // 00000000434C: 7E5E412F
	buffer_load_dwordx4 a[20:23], v35, s[12:15], 0 offen       // 000000004350: E05C1000 80831423
	v_add_f32_e64 v44, v44, 1.0                                // 000000004358: D101002C 0001E52C
	v_add_f32_e64 v45, v45, 1.0                                // 000000004360: D101002D 0001E52D
	v_add_f32_e64 v46, v46, 1.0                                // 000000004368: D101002E 0001E52E
	v_add_f32_e64 v47, v47, 1.0                                // 000000004370: D101002F 0001E52F
	v_rcp_f32_e32 v44, v44                                     // 000000004378: 7E58452C
	v_rcp_f32_e32 v45, v45                                     // 00000000437C: 7E5A452D
	v_rcp_f32_e32 v46, v46                                     // 000000004380: 7E5C452E
	v_rcp_f32_e32 v47, v47                                     // 000000004384: 7E5E452F
	v_mul_f32_e32 v136, v136, v44                              // 000000004388: 0B105988
	v_mul_f32_e32 v137, v137, v45                              // 00000000438C: 0B125B89
	v_mul_f32_e32 v138, v138, v46                              // 000000004390: 0B145D8A
	v_mul_f32_e32 v139, v139, v47                              // 000000004394: 0B165F8B
	v_mul_f32_e32 v136, v136, v72                              // 000000004398: 0B109188
	v_mul_f32_e32 v137, v137, v73                              // 00000000439C: 0B129389
	v_mul_f32_e32 v138, v138, v74                              // 0000000043A0: 0B14958A
	v_mul_f32_e32 v139, v139, v75                              // 0000000043A4: 0B16978B
	buffer_load_dwordx4 a[24:27], v36, s[12:15], 0 offen       // 0000000043A8: E05C1000 80831824
	v_mul_f32_e32 v44, v140, v140                              // 0000000043B0: 0A59198C
	v_mul_f32_e32 v45, v141, v141                              // 0000000043B4: 0A5B1B8D
	v_mul_f32_e32 v46, v142, v142                              // 0000000043B8: 0A5D1D8E
	v_mul_f32_e32 v47, v143, v143                              // 0000000043BC: 0A5F1F8F
	v_fma_f32 v44, v44, s77, v1                                // 0000000043C0: D1CB002C 04049B2C
	v_fma_f32 v45, v45, s77, v1                                // 0000000043C8: D1CB002D 04049B2D
	v_fma_f32 v46, v46, s77, v1                                // 0000000043D0: D1CB002E 04049B2E
	v_fma_f32 v47, v47, s77, v1                                // 0000000043D8: D1CB002F 04049B2F
	v_mul_f32_e32 v44, v44, v140                               // 0000000043E0: 0A59192C
	v_mul_f32_e32 v45, v45, v141                               // 0000000043E4: 0A5B1B2D
	v_mul_f32_e32 v46, v46, v142                               // 0000000043E8: 0A5D1D2E
	v_mul_f32_e32 v47, v47, v143                               // 0000000043EC: 0A5F1F2F
	v_mul_f32_e64 v44, v44, s6                                 // 0000000043F0: D105002C 00000D2C
	v_mul_f32_e64 v45, v45, s6                                 // 0000000043F8: D105002D 00000D2D
	v_mul_f32_e64 v46, v46, s6                                 // 000000004400: D105002E 00000D2E
	v_mul_f32_e64 v47, v47, s6                                 // 000000004408: D105002F 00000D2F
	v_exp_f32_e32 v44, v44                                     // 000000004410: 7E58412C
	v_exp_f32_e32 v45, v45                                     // 000000004414: 7E5A412D
	v_exp_f32_e32 v46, v46                                     // 000000004418: 7E5C412E
	v_exp_f32_e32 v47, v47                                     // 00000000441C: 7E5E412F
	buffer_load_dwordx4 a[28:31], v37, s[12:15], 0 offen       // 000000004420: E05C1000 80831C25
	v_add_f32_e64 v44, v44, 1.0                                // 000000004428: D101002C 0001E52C
	v_add_f32_e64 v45, v45, 1.0                                // 000000004430: D101002D 0001E52D
	v_add_f32_e64 v46, v46, 1.0                                // 000000004438: D101002E 0001E52E
	v_add_f32_e64 v47, v47, 1.0                                // 000000004440: D101002F 0001E52F
	v_rcp_f32_e32 v44, v44                                     // 000000004448: 7E58452C
	v_rcp_f32_e32 v45, v45                                     // 00000000444C: 7E5A452D
	v_rcp_f32_e32 v46, v46                                     // 000000004450: 7E5C452E
	v_rcp_f32_e32 v47, v47                                     // 000000004454: 7E5E452F
	v_mul_f32_e32 v140, v140, v44                              // 000000004458: 0B18598C
	v_mul_f32_e32 v141, v141, v45                              // 00000000445C: 0B1A5B8D
	v_mul_f32_e32 v142, v142, v46                              // 000000004460: 0B1C5D8E
	v_mul_f32_e32 v143, v143, v47                              // 000000004464: 0B1E5F8F
	v_mul_f32_e32 v140, v140, v76                              // 000000004468: 0B18998C
	v_mul_f32_e32 v141, v141, v77                              // 00000000446C: 0B1A9B8D
	v_mul_f32_e32 v142, v142, v78                              // 000000004470: 0B1C9D8E
	v_mul_f32_e32 v143, v143, v79                              // 000000004474: 0B1E9F8F
	v_mul_f32_dpp v128, v16, v128 row_newbcast:0 row_mask:0xf bank_mask:0xf// 000000004478: 0B0100FA FF015010
	v_mul_f32_dpp v129, v16, v129 row_newbcast:1 row_mask:0xf bank_mask:0xf// 000000004480: 0B0302FA FF015110
	v_mul_f32_dpp v130, v16, v130 row_newbcast:2 row_mask:0xf bank_mask:0xf// 000000004488: 0B0504FA FF015210
	v_mul_f32_dpp v131, v16, v131 row_newbcast:3 row_mask:0xf bank_mask:0xf// 000000004490: 0B0706FA FF015310
	v_mul_f32_dpp v132, v16, v132 row_newbcast:0 row_mask:0xf bank_mask:0xf// 000000004498: 0B0908FA FF015010
	v_mul_f32_dpp v133, v16, v133 row_newbcast:1 row_mask:0xf bank_mask:0xf// 0000000044A0: 0B0B0AFA FF015110
	v_mul_f32_dpp v134, v16, v134 row_newbcast:2 row_mask:0xf bank_mask:0xf// 0000000044A8: 0B0D0CFA FF015210
	v_mul_f32_dpp v135, v16, v135 row_newbcast:3 row_mask:0xf bank_mask:0xf// 0000000044B0: 0B0F0EFA FF015310
	v_mul_f32_dpp v136, v16, v136 row_newbcast:4 row_mask:0xf bank_mask:0xf// 0000000044B8: 0B1110FA FF015410
	v_mul_f32_dpp v137, v16, v137 row_newbcast:5 row_mask:0xf bank_mask:0xf// 0000000044C0: 0B1312FA FF015510
	v_mul_f32_dpp v138, v16, v138 row_newbcast:6 row_mask:0xf bank_mask:0xf// 0000000044C8: 0B1514FA FF015610
	v_mul_f32_dpp v139, v16, v139 row_newbcast:7 row_mask:0xf bank_mask:0xf// 0000000044D0: 0B1716FA FF015710
	v_mul_f32_dpp v140, v16, v140 row_newbcast:4 row_mask:0xf bank_mask:0xf// 0000000044D8: 0B1918FA FF015410
	v_mul_f32_dpp v141, v16, v141 row_newbcast:5 row_mask:0xf bank_mask:0xf// 0000000044E0: 0B1B1AFA FF015510
	v_mul_f32_dpp v142, v16, v142 row_newbcast:6 row_mask:0xf bank_mask:0xf// 0000000044E8: 0B1D1CFA FF015610
	v_mul_f32_dpp v143, v16, v143 row_newbcast:7 row_mask:0xf bank_mask:0xf// 0000000044F0: 0B1F1EFA FF015710
	v_lshlrev_b32_e32 v44, 2, v0                               // 0000000044F8: 24580082
	s_mul_i32 s60, s82, s71                                    // 0000000044FC: 923C4752
	v_add_u32_e64 v80, v44, s60                                // 000000004500: D1340050 0000792C
	v_mov_b32_e32 v81, 0                                       // 000000004508: 7EA20280
	s_mul_i32 s60, s83, s71                                    // 00000000450C: 923C4753
	v_add_u32_e64 v82, v44, s60                                // 000000004510: D1340052 0000792C
	v_mov_b32_e32 v83, 0                                       // 000000004518: 7EA60280
	s_mul_i32 s60, s84, s71                                    // 00000000451C: 923C4754
	v_add_u32_e64 v84, v44, s60                                // 000000004520: D1340054 0000792C
	v_mov_b32_e32 v85, 0                                       // 000000004528: 7EAA0280
	s_mul_i32 s60, s85, s71                                    // 00000000452C: 923C4755
	v_add_u32_e64 v86, v44, s60                                // 000000004530: D1340056 0000792C
	v_mov_b32_e32 v87, 0                                       // 000000004538: 7EAE0280
	s_mul_i32 s60, s86, s71                                    // 00000000453C: 923C4756
	v_add_u32_e64 v88, v44, s60                                // 000000004540: D1340058 0000792C
	v_mov_b32_e32 v89, 0                                       // 000000004548: 7EB20280
	s_mul_i32 s60, s87, s71                                    // 00000000454C: 923C4757
	v_add_u32_e64 v90, v44, s60                                // 000000004550: D134005A 0000792C
	v_mov_b32_e32 v91, 0                                       // 000000004558: 7EB60280
	s_mul_i32 s60, s88, s71                                    // 00000000455C: 923C4758
	v_add_u32_e64 v92, v44, s60                                // 000000004560: D134005C 0000792C
	v_mov_b32_e32 v93, 0                                       // 000000004568: 7EBA0280
	s_mul_i32 s60, s89, s71                                    // 00000000456C: 923C4759
	v_add_u32_e64 v94, v44, s60                                // 000000004570: D134005E 0000792C
	v_mov_b32_e32 v95, 0                                       // 000000004578: 7EBE0280
	buffer_load_dword v11, v5, s[16:19], 0 offen               // 00000000457C: E0501000 80040B05
	v_mov_b32_e32 v20, 0x358637bd                              // 000000004584: 7E2802FF 358637BD
	v_mov_b32_e32 v21, 0x358637bd                              // 00000000458C: 7E2A02FF 358637BD
	v_max3_f32 v20, |v128|, |v129|, v20                        // 000000004594: D1D30314 04530380
	v_max3_f32 v20, |v130|, |v131|, v20                        // 00000000459C: D1D30314 04530782
	v_max3_f32 v21, |v132|, |v133|, v21                        // 0000000045A4: D1D30315 04570B84
	v_max3_f32 v21, |v134|, |v135|, v21                        // 0000000045AC: D1D30315 04570F86
	v_max3_f32 v20, |v136|, |v137|, v20                        // 0000000045B4: D1D30314 04531388
	v_max3_f32 v20, |v138|, |v139|, v20                        // 0000000045BC: D1D30314 0453178A
	v_max3_f32 v21, |v140|, |v141|, v21                        // 0000000045C4: D1D30315 04571B8C
	v_max3_f32 v21, |v142|, |v143|, v21                        // 0000000045CC: D1D30315 04571F8E
	v_lshlrev_b32_e32 v44, 3, v0                               // 0000000045D4: 24580083
	s_mul_i32 s60, 0x200, s7                                   // 0000000045D8: 923C07FF 00000200
	v_add_u32_e32 v44, s60, v44                                // 0000000045E0: 6858583C
	ds_write_b64 v44, v[20:21] offset:16640                    // 0000000045E4: D89A4100 0000142C
	s_waitcnt lgkmcnt(0)                                       // 0000000045EC: BF8CC07F
	s_barrier                                                  // 0000000045F0: BF8A0000
	v_and_b32_e32 v44, 15, v0                                  // 0000000045F4: 2658008F
	v_lshlrev_b32_e32 v44, 3, v44                              // 0000000045F8: 24585883
	ds_read_b64 v[96:97], v44 offset:16640                     // 0000000045FC: D8EC4100 6000002C
	ds_read_b64 v[98:99], v44 offset:16768                     // 000000004604: D8EC4180 6200002C
	ds_read_b64 v[100:101], v44 offset:16896                   // 00000000460C: D8EC4200 6400002C
	ds_read_b64 v[102:103], v44 offset:17024                   // 000000004614: D8EC4280 6600002C
	ds_read_b64 v[104:105], v44 offset:17152                   // 00000000461C: D8EC4300 6800002C
	ds_read_b64 v[106:107], v44 offset:17280                   // 000000004624: D8EC4380 6A00002C
	ds_read_b64 v[108:109], v44 offset:17408                   // 00000000462C: D8EC4400 6C00002C
	ds_read_b64 v[110:111], v44 offset:17536                   // 000000004634: D8EC4480 6E00002C
	ds_read_b64 v[112:113], v44 offset:17664                   // 00000000463C: D8EC4500 7000002C
	ds_read_b64 v[114:115], v44 offset:17792                   // 000000004644: D8EC4580 7200002C
	ds_read_b64 v[116:117], v44 offset:17920                   // 00000000464C: D8EC4600 7400002C
	ds_read_b64 v[118:119], v44 offset:18048                   // 000000004654: D8EC4680 7600002C
	ds_read_b64 v[120:121], v44 offset:18176                   // 00000000465C: D8EC4700 7800002C
	ds_read_b64 v[122:123], v44 offset:18304                   // 000000004664: D8EC4780 7A00002C
	ds_read_b64 v[124:125], v44 offset:18432                   // 00000000466C: D8EC4800 7C00002C
	ds_read_b64 v[126:127], v44 offset:18560                   // 000000004674: D8EC4880 7E00002C
	s_waitcnt lgkmcnt(0)                                       // 00000000467C: BF8CC07F
	v_max3_f32 v20, |v96|, |v98|, v20                          // 000000004680: D1D30314 0452C560
	v_max3_f32 v21, |v97|, |v99|, v21                          // 000000004688: D1D30315 0456C761
	v_max3_f32 v20, |v100|, |v102|, v20                        // 000000004690: D1D30314 0452CD64
	v_max3_f32 v21, |v101|, |v103|, v21                        // 000000004698: D1D30315 0456CF65
	v_max3_f32 v20, |v104|, |v106|, v20                        // 0000000046A0: D1D30314 0452D568
	v_max3_f32 v21, |v105|, |v107|, v21                        // 0000000046A8: D1D30315 0456D769
	v_max3_f32 v20, |v108|, |v110|, v20                        // 0000000046B0: D1D30314 0452DD6C
	v_max3_f32 v21, |v109|, |v111|, v21                        // 0000000046B8: D1D30315 0456DF6D
	v_max3_f32 v20, |v112|, |v114|, v20                        // 0000000046C0: D1D30314 0452E570
	v_max3_f32 v21, |v113|, |v115|, v21                        // 0000000046C8: D1D30315 0456E771
	v_max3_f32 v20, |v116|, |v118|, v20                        // 0000000046D0: D1D30314 0452ED74
	v_max3_f32 v21, |v117|, |v119|, v21                        // 0000000046D8: D1D30315 0456EF75
	v_max3_f32 v20, |v120|, |v122|, v20                        // 0000000046E0: D1D30314 0452F578
	v_max3_f32 v21, |v121|, |v123|, v21                        // 0000000046E8: D1D30315 0456F779
	v_max3_f32 v20, |v124|, |v126|, v20                        // 0000000046F0: D1D30314 0452FD7C
	v_max3_f32 v21, |v125|, |v127|, v21                        // 0000000046F8: D1D30315 0456FF7D
	v_rcp_f32_e32 v20, v20                                     // 000000004700: 7E284514
	v_rcp_f32_e32 v21, v21                                     // 000000004704: 7E2A4515
	v_mov_b32_e32 v44, 0x43e00000                              // 000000004708: 7E5802FF 43E00000
	v_mul_f32_e32 v20, v44, v20                                // 000000004710: 0A28292C
	v_mul_f32_e32 v21, v44, v21                                // 000000004714: 0A2A2B2C
	v_mul_f32_e32 v128, v20, v128                              // 000000004718: 0B010114
	v_mul_f32_e32 v129, v20, v129                              // 00000000471C: 0B030314
	v_mul_f32_e32 v130, v20, v130                              // 000000004720: 0B050514
	v_mul_f32_e32 v131, v20, v131                              // 000000004724: 0B070714
	v_cvt_pk_fp8_f32 v128, v128, v129                          // 000000004728: D2A20080 00030380
	v_cvt_pk_fp8_f32 v128, v130, v131 op_sel:[0,0,1]           // 000000004730: D2A24080 00030782
	v_mul_f32_e32 v132, v21, v132                              // 000000004738: 0B090915
	v_mul_f32_e32 v133, v21, v133                              // 00000000473C: 0B0B0B15
	v_mul_f32_e32 v134, v21, v134                              // 000000004740: 0B0D0D15
	v_mul_f32_e32 v135, v21, v135                              // 000000004744: 0B0F0F15
	v_cvt_pk_fp8_f32 v129, v132, v133                          // 000000004748: D2A20081 00030B84
	v_cvt_pk_fp8_f32 v129, v134, v135 op_sel:[0,0,1]           // 000000004750: D2A24081 00030F86
	v_mul_f32_e32 v136, v20, v136                              // 000000004758: 0B111114
	v_mul_f32_e32 v137, v20, v137                              // 00000000475C: 0B131314
	v_mul_f32_e32 v138, v20, v138                              // 000000004760: 0B151514
	v_mul_f32_e32 v139, v20, v139                              // 000000004764: 0B171714
	v_cvt_pk_fp8_f32 v130, v136, v137                          // 000000004768: D2A20082 00031388
	v_cvt_pk_fp8_f32 v130, v138, v139 op_sel:[0,0,1]           // 000000004770: D2A24082 0003178A
	v_mul_f32_e32 v140, v21, v140                              // 000000004778: 0B191915
	v_mul_f32_e32 v141, v21, v141                              // 00000000477C: 0B1B1B15
	v_mul_f32_e32 v142, v21, v142                              // 000000004780: 0B1D1D15
	v_mul_f32_e32 v143, v21, v143                              // 000000004784: 0B1F1F15
	v_cvt_pk_fp8_f32 v131, v140, v141                          // 000000004788: D2A20083 00031B8C
	v_cvt_pk_fp8_f32 v131, v142, v143 op_sel:[0,0,1]           // 000000004790: D2A24083 00031F8E
	v_rcp_f32_e32 v22, v20                                     // 000000004798: 7E2C4514
	v_rcp_f32_e32 v23, v21                                     // 00000000479C: 7E2E4515
	v_lshrrev_b32_e32 v44, 5, v0                               // 0000000047A0: 20580085
	v_lshlrev_b32_e32 v45, 5, v44                              // 0000000047A4: 245A5885
	v_and_b32_e32 v44, 31, v0                                  // 0000000047A8: 2658009F
	v_lshrrev_b32_e32 v46, 4, v44                              // 0000000047AC: 205C5884
	v_add_u32_e32 v45, v46, v45                                // 0000000047B0: 685A5B2E
	v_and_b32_e32 v44, 15, v0                                  // 0000000047B4: 2658008F
	v_lshlrev_b32_e32 v44, 1, v44                              // 0000000047B8: 24585881
	v_add_u32_e32 v45, v44, v45                                // 0000000047BC: 685A5B2C
	v_lshlrev_b32_e32 v44, 2, v45                              // 0000000047C0: 24585A82
	s_mul_i32 s60, 0x100, s7                                   // 0000000047C4: 923C07FF 00000100
	v_add_u32_e64 v44, v44, s60                                // 0000000047CC: D134002C 0000792C
	ds_write_b32 v44, v128 offset:18688                        // 0000000047D4: D81A4900 0000802C
	ds_write_b32 v44, v129 offset:20736                        // 0000000047DC: D81A5100 0000812C
	ds_write_b32 v44, v130 offset:19712                        // 0000000047E4: D81A4D00 0000822C
	ds_write_b32 v44, v131 offset:21760                        // 0000000047EC: D81A5500 0000832C
	s_waitcnt lgkmcnt(0)                                       // 0000000047F4: BF8CC07F
	s_barrier                                                  // 0000000047F8: BF8A0000
	v_lshrrev_b32_e32 v44, 4, v0                               // 0000000047FC: 20580084
	v_lshlrev_b32_e32 v45, 6, v44                              // 000000004800: 245A5886
	v_and_b32_e32 v44, 15, v0                                  // 000000004804: 2658008F
	v_lshlrev_b32_e32 v44, 1, v44                              // 000000004808: 24585881
	v_add_u32_e32 v45, v44, v45                                // 00000000480C: 685A5B2C
	v_lshlrev_b32_e32 v44, 2, v45                              // 000000004810: 24585A82
	ds_read_b64 v[128:129], v44 offset:18688                   // 000000004814: D8EC4900 8000002C
	ds_read_b64 v[130:131], v44 offset:18816                   // 00000000481C: D8EC4980 8200002C
	ds_read_b64 v[132:133], v44 offset:19712                   // 000000004824: D8EC4D00 8400002C
	ds_read_b64 v[134:135], v44 offset:19840                   // 00000000482C: D8EC4D80 8600002C
	ds_read_b64 v[136:137], v44 offset:20736                   // 000000004834: D8EC5100 8800002C
	ds_read_b64 v[138:139], v44 offset:20864                   // 00000000483C: D8EC5180 8A00002C
	ds_read_b64 v[140:141], v44 offset:21760                   // 000000004844: D8EC5500 8C00002C
	ds_read_b64 v[142:143], v44 offset:21888                   // 00000000484C: D8EC5580 8E00002C
	s_add_u32 s12, s56, s12                                    // 000000004854: 800C0C38
	s_addc_u32 s13, 0, s13                                     // 000000004858: 820D0D80
	s_add_u32 s16, s79, s16                                    // 00000000485C: 8010104F
	s_addc_u32 s17, 0, s17                                     // 000000004860: 82111180
	s_mov_b32 s80, 0                                           // 000000004864: BED00080
	s_waitcnt vmcnt(0) expcnt(0) lgkmcnt(0)                    // 000000004868: BF8C0000

000000000000486c <label_069B>:
	s_waitcnt vmcnt(21)                                        // 00000000486C: BF8C4F75
	s_barrier                                                  // 000000004870: BF8A0000
	v_mfma_f32_16x16x32_fp8_fp8 v[144:147], a[0:1], v[128:129], 0// 000000004874: D3F30090 0A030100
	v_mfma_f32_16x16x32_fp8_fp8 v[144:147], a[2:3], v[130:131], v[144:147]// 00000000487C: D3F30090 0E430502
	buffer_load_dwordx4 a[32:35], v34, s[12:15], 0 offen       // 000000004884: E05C1000 80832022
	v_mfma_f32_16x16x32_fp8_fp8 v[148:151], a[0:1], v[136:137], 0// 00000000488C: D3F30094 0A031100
	v_mfma_f32_16x16x32_fp8_fp8 v[148:151], a[2:3], v[138:139], v[148:151]// 000000004894: D3F30094 0E531502
	v_mfma_f32_16x16x32_fp8_fp8 v[152:155], a[4:5], v[128:129], 0// 00000000489C: D3F30098 0A030104
	v_mfma_f32_16x16x32_fp8_fp8 v[152:155], a[6:7], v[130:131], v[152:155]// 0000000048A4: D3F30098 0E630506
	buffer_load_dwordx4 a[36:39], v35, s[12:15], 0 offen       // 0000000048AC: E05C1000 80832423
	v_mfma_f32_16x16x32_fp8_fp8 v[156:159], a[4:5], v[136:137], 0// 0000000048B4: D3F3009C 0A031104
	v_mfma_f32_16x16x32_fp8_fp8 v[156:159], a[6:7], v[138:139], v[156:159]// 0000000048BC: D3F3009C 0E731506
	v_mfma_f32_16x16x32_fp8_fp8 v[160:163], a[8:9], v[128:129], 0// 0000000048C4: D3F300A0 0A030108
	v_mfma_f32_16x16x32_fp8_fp8 v[160:163], a[10:11], v[130:131], v[160:163]// 0000000048CC: D3F300A0 0E83050A
	buffer_load_dwordx4 a[40:43], v36, s[12:15], 0 offen       // 0000000048D4: E05C1000 80832824
	v_mfma_f32_16x16x32_fp8_fp8 v[164:167], a[8:9], v[136:137], 0// 0000000048DC: D3F300A4 0A031108
	v_mfma_f32_16x16x32_fp8_fp8 v[164:167], a[10:11], v[138:139], v[164:167]// 0000000048E4: D3F300A4 0E93150A
	v_mfma_f32_16x16x32_fp8_fp8 v[168:171], a[12:13], v[128:129], 0// 0000000048EC: D3F300A8 0A03010C
	v_mfma_f32_16x16x32_fp8_fp8 v[168:171], a[14:15], v[130:131], v[168:171]// 0000000048F4: D3F300A8 0EA3050E
	buffer_load_dwordx4 a[44:47], v37, s[12:15], 0 offen       // 0000000048FC: E05C1000 80832C25
	s_add_u32 s12, s78, s12                                    // 000000004904: 800C0C4E
	s_addc_u32 s13, 0, s13                                     // 000000004908: 820D0D80
	v_mfma_f32_16x16x32_fp8_fp8 v[172:175], a[12:13], v[136:137], 0// 00000000490C: D3F300AC 0A03110C
	v_mfma_f32_16x16x32_fp8_fp8 v[172:175], a[14:15], v[138:139], v[172:175]// 000000004914: D3F300AC 0EB3150E
	s_waitcnt vmcnt(20)                                        // 00000000491C: BF8C4F74
	v_mfma_f32_16x16x32_fp8_fp8 v[144:147], a[16:17], v[132:133], v[144:147]// 000000004920: D3F30090 0E430910
	v_mfma_f32_16x16x32_fp8_fp8 v[144:147], a[18:19], v[134:135], v[144:147]// 000000004928: D3F30090 0E430D12
	buffer_load_dwordx4 a[48:51], v34, s[12:15], 0 offen       // 000000004930: E05C1000 80833022
	v_mfma_f32_16x16x32_fp8_fp8 v[148:151], a[16:17], v[140:141], v[148:151]// 000000004938: D3F30094 0E531910
	v_mfma_f32_16x16x32_fp8_fp8 v[148:151], a[18:19], v[142:143], v[148:151]// 000000004940: D3F30094 0E531D12
	buffer_load_dword v12, v5, s[16:19], 0 offen               // 000000004948: E0501000 80040C05
	v_mfma_f32_16x16x32_fp8_fp8 v[152:155], a[20:21], v[132:133], v[152:155]// 000000004950: D3F30098 0E630914
	v_mfma_f32_16x16x32_fp8_fp8 v[152:155], a[22:23], v[134:135], v[152:155]// 000000004958: D3F30098 0E630D16
	buffer_load_dwordx4 a[52:55], v35, s[12:15], 0 offen       // 000000004960: E05C1000 80833423
	v_mfma_f32_16x16x32_fp8_fp8 v[156:159], a[20:21], v[140:141], v[156:159]// 000000004968: D3F3009C 0E731914
	v_mfma_f32_16x16x32_fp8_fp8 v[156:159], a[22:23], v[142:143], v[156:159]// 000000004970: D3F3009C 0E731D16
	v_mfma_f32_16x16x32_fp8_fp8 v[160:163], a[24:25], v[132:133], v[160:163]// 000000004978: D3F300A0 0E830918
	v_mfma_f32_16x16x32_fp8_fp8 v[160:163], a[26:27], v[134:135], v[160:163]// 000000004980: D3F300A0 0E830D1A
	buffer_load_dwordx4 a[56:59], v36, s[12:15], 0 offen       // 000000004988: E05C1000 80833824
	v_mfma_f32_16x16x32_fp8_fp8 v[164:167], a[24:25], v[140:141], v[164:167]// 000000004990: D3F300A4 0E931918
	v_mfma_f32_16x16x32_fp8_fp8 v[164:167], a[26:27], v[142:143], v[164:167]// 000000004998: D3F300A4 0E931D1A
	v_mfma_f32_16x16x32_fp8_fp8 v[168:171], a[28:29], v[132:133], v[168:171]// 0000000049A0: D3F300A8 0EA3091C
	v_mfma_f32_16x16x32_fp8_fp8 v[168:171], a[30:31], v[134:135], v[168:171]// 0000000049A8: D3F300A8 0EA30D1E
	buffer_load_dwordx4 a[60:63], v37, s[12:15], 0 offen       // 0000000049B0: E05C1000 80833C25
	v_mfma_f32_16x16x32_fp8_fp8 v[172:175], a[28:29], v[140:141], v[172:175]// 0000000049B8: D3F300AC 0EB3191C
	v_mfma_f32_16x16x32_fp8_fp8 v[172:175], a[30:31], v[142:143], v[172:175]// 0000000049C0: D3F300AC 0EB31D1E
	s_add_u32 s60, 0x200, s80                                  // 0000000049C8: 803C50FF 00000200
	s_cmp_lt_u32 s60, s81                                      // 0000000049D0: BF0A513C
	s_cselect_b32 s56, s56, 0                                  // 0000000049D4: 85388038
	s_cselect_b32 s78, s78, 0                                  // 0000000049D8: 854E804E
	s_cselect_b32 s79, s79, 0                                  // 0000000049DC: 854F804F
	s_add_u32 s12, s56, s12                                    // 0000000049E0: 800C0C38
	s_addc_u32 s13, 0, s13                                     // 0000000049E4: 820D0D80
	s_add_u32 s16, s79, s16                                    // 0000000049E8: 8010104F
	s_addc_u32 s17, 0, s17                                     // 0000000049EC: 82111180
	v_mul_f32_e32 v144, v22, v144                              // 0000000049F0: 0B212116
	v_mul_f32_e32 v145, v22, v145                              // 0000000049F4: 0B232316
	v_mul_f32_e32 v146, v22, v146                              // 0000000049F8: 0B252516
	v_mul_f32_e32 v147, v22, v147                              // 0000000049FC: 0B272716
	v_mul_f32_dpp v144, v11, v144 row_newbcast:0 row_mask:0xf bank_mask:0xf// 000000004A00: 0B2120FA FF01500B
	v_mul_f32_dpp v145, v11, v145 row_newbcast:1 row_mask:0xf bank_mask:0xf// 000000004A08: 0B2322FA FF01510B
	v_mul_f32_dpp v146, v11, v146 row_newbcast:2 row_mask:0xf bank_mask:0xf// 000000004A10: 0B2524FA FF01520B
	v_mul_f32_dpp v147, v11, v147 row_newbcast:3 row_mask:0xf bank_mask:0xf// 000000004A18: 0B2726FA FF01530B
	v_mul_f32_e32 v144, v17, v144                              // 000000004A20: 0B212111
	v_mul_f32_e32 v145, v17, v145                              // 000000004A24: 0B232311
	v_mul_f32_e32 v146, v17, v146                              // 000000004A28: 0B252511
	v_mul_f32_e32 v147, v17, v147                              // 000000004A2C: 0B272711
	v_mul_f32_e32 v148, v23, v148                              // 000000004A30: 0B292917
	v_mul_f32_e32 v149, v23, v149                              // 000000004A34: 0B2B2B17
	v_mul_f32_e32 v150, v23, v150                              // 000000004A38: 0B2D2D17
	v_mul_f32_e32 v151, v23, v151                              // 000000004A3C: 0B2F2F17
	v_mul_f32_dpp v148, v11, v148 row_newbcast:0 row_mask:0xf bank_mask:0xf// 000000004A40: 0B2928FA FF01500B
	v_mul_f32_dpp v149, v11, v149 row_newbcast:1 row_mask:0xf bank_mask:0xf// 000000004A48: 0B2B2AFA FF01510B
	v_mul_f32_dpp v150, v11, v150 row_newbcast:2 row_mask:0xf bank_mask:0xf// 000000004A50: 0B2D2CFA FF01520B
	v_mul_f32_dpp v151, v11, v151 row_newbcast:3 row_mask:0xf bank_mask:0xf// 000000004A58: 0B2F2EFA FF01530B
	v_mul_f32_e32 v148, v18, v148                              // 000000004A60: 0B292912
	v_mul_f32_e32 v149, v18, v149                              // 000000004A64: 0B2B2B12
	v_mul_f32_e32 v150, v18, v150                              // 000000004A68: 0B2D2D12
	v_mul_f32_e32 v151, v18, v151                              // 000000004A6C: 0B2F2F12
	v_mul_f32_e32 v152, v22, v152                              // 000000004A70: 0B313116
	v_mul_f32_e32 v153, v22, v153                              // 000000004A74: 0B333316
	v_mul_f32_e32 v154, v22, v154                              // 000000004A78: 0B353516
	v_mul_f32_e32 v155, v22, v155                              // 000000004A7C: 0B373716
	v_mul_f32_dpp v152, v11, v152 row_newbcast:4 row_mask:0xf bank_mask:0xf// 000000004A80: 0B3130FA FF01540B
	v_mul_f32_dpp v153, v11, v153 row_newbcast:5 row_mask:0xf bank_mask:0xf// 000000004A88: 0B3332FA FF01550B
	v_mul_f32_dpp v154, v11, v154 row_newbcast:6 row_mask:0xf bank_mask:0xf// 000000004A90: 0B3534FA FF01560B
	v_mul_f32_dpp v155, v11, v155 row_newbcast:7 row_mask:0xf bank_mask:0xf// 000000004A98: 0B3736FA FF01570B
	v_mul_f32_e32 v152, v17, v152                              // 000000004AA0: 0B313111
	v_mul_f32_e32 v153, v17, v153                              // 000000004AA4: 0B333311
	v_mul_f32_e32 v154, v17, v154                              // 000000004AA8: 0B353511
	v_mul_f32_e32 v155, v17, v155                              // 000000004AAC: 0B373711
	v_mul_f32_e32 v156, v23, v156                              // 000000004AB0: 0B393917
	v_mul_f32_e32 v157, v23, v157                              // 000000004AB4: 0B3B3B17
	v_mul_f32_e32 v158, v23, v158                              // 000000004AB8: 0B3D3D17
	v_mul_f32_e32 v159, v23, v159                              // 000000004ABC: 0B3F3F17
	v_mul_f32_dpp v156, v11, v156 row_newbcast:4 row_mask:0xf bank_mask:0xf// 000000004AC0: 0B3938FA FF01540B
	v_mul_f32_dpp v157, v11, v157 row_newbcast:5 row_mask:0xf bank_mask:0xf// 000000004AC8: 0B3B3AFA FF01550B
	v_mul_f32_dpp v158, v11, v158 row_newbcast:6 row_mask:0xf bank_mask:0xf// 000000004AD0: 0B3D3CFA FF01560B
	v_mul_f32_dpp v159, v11, v159 row_newbcast:7 row_mask:0xf bank_mask:0xf// 000000004AD8: 0B3F3EFA FF01570B
	v_mul_f32_e32 v156, v18, v156                              // 000000004AE0: 0B393912
	v_mul_f32_e32 v157, v18, v157                              // 000000004AE4: 0B3B3B12
	v_mul_f32_e32 v158, v18, v158                              // 000000004AE8: 0B3D3D12
	v_mul_f32_e32 v159, v18, v159                              // 000000004AEC: 0B3F3F12
	v_mul_f32_e32 v160, v22, v160                              // 000000004AF0: 0B414116
	v_mul_f32_e32 v161, v22, v161                              // 000000004AF4: 0B434316
	v_mul_f32_e32 v162, v22, v162                              // 000000004AF8: 0B454516
	v_mul_f32_e32 v163, v22, v163                              // 000000004AFC: 0B474716
	v_mul_f32_dpp v160, v11, v160 row_newbcast:8 row_mask:0xf bank_mask:0xf// 000000004B00: 0B4140FA FF01580B
	v_mul_f32_dpp v161, v11, v161 row_newbcast:9 row_mask:0xf bank_mask:0xf// 000000004B08: 0B4342FA FF01590B
	v_mul_f32_dpp v162, v11, v162 row_newbcast:10 row_mask:0xf bank_mask:0xf// 000000004B10: 0B4544FA FF015A0B
	v_mul_f32_dpp v163, v11, v163 row_newbcast:11 row_mask:0xf bank_mask:0xf// 000000004B18: 0B4746FA FF015B0B
	v_mul_f32_e32 v160, v17, v160                              // 000000004B20: 0B414111
	v_mul_f32_e32 v161, v17, v161                              // 000000004B24: 0B434311
	v_mul_f32_e32 v162, v17, v162                              // 000000004B28: 0B454511
	v_mul_f32_e32 v163, v17, v163                              // 000000004B2C: 0B474711
	v_mul_f32_e32 v164, v23, v164                              // 000000004B30: 0B494917
	v_mul_f32_e32 v165, v23, v165                              // 000000004B34: 0B4B4B17
	v_mul_f32_e32 v166, v23, v166                              // 000000004B38: 0B4D4D17
	v_mul_f32_e32 v167, v23, v167                              // 000000004B3C: 0B4F4F17
	v_mul_f32_dpp v164, v11, v164 row_newbcast:8 row_mask:0xf bank_mask:0xf// 000000004B40: 0B4948FA FF01580B
	v_mul_f32_dpp v165, v11, v165 row_newbcast:9 row_mask:0xf bank_mask:0xf// 000000004B48: 0B4B4AFA FF01590B
	v_mul_f32_dpp v166, v11, v166 row_newbcast:10 row_mask:0xf bank_mask:0xf// 000000004B50: 0B4D4CFA FF015A0B
	v_mul_f32_dpp v167, v11, v167 row_newbcast:11 row_mask:0xf bank_mask:0xf// 000000004B58: 0B4F4EFA FF015B0B
	v_mul_f32_e32 v164, v18, v164                              // 000000004B60: 0B494912
	v_mul_f32_e32 v165, v18, v165                              // 000000004B64: 0B4B4B12
	v_mul_f32_e32 v166, v18, v166                              // 000000004B68: 0B4D4D12
	v_mul_f32_e32 v167, v18, v167                              // 000000004B6C: 0B4F4F12
	v_mul_f32_e32 v168, v22, v168                              // 000000004B70: 0B515116
	v_mul_f32_e32 v169, v22, v169                              // 000000004B74: 0B535316
	v_mul_f32_e32 v170, v22, v170                              // 000000004B78: 0B555516
	v_mul_f32_e32 v171, v22, v171                              // 000000004B7C: 0B575716
	v_mul_f32_dpp v168, v11, v168 row_newbcast:12 row_mask:0xf bank_mask:0xf// 000000004B80: 0B5150FA FF015C0B
	v_mul_f32_dpp v169, v11, v169 row_newbcast:13 row_mask:0xf bank_mask:0xf// 000000004B88: 0B5352FA FF015D0B
	v_mul_f32_dpp v170, v11, v170 row_newbcast:14 row_mask:0xf bank_mask:0xf// 000000004B90: 0B5554FA FF015E0B
	v_mul_f32_dpp v171, v11, v171 row_newbcast:15 row_mask:0xf bank_mask:0xf// 000000004B98: 0B5756FA FF015F0B
	v_mul_f32_e32 v168, v17, v168                              // 000000004BA0: 0B515111
	v_mul_f32_e32 v169, v17, v169                              // 000000004BA4: 0B535311
	v_mul_f32_e32 v170, v17, v170                              // 000000004BA8: 0B555511
	v_mul_f32_e32 v171, v17, v171                              // 000000004BAC: 0B575711
	v_mul_f32_e32 v172, v23, v172                              // 000000004BB0: 0B595917
	v_mul_f32_e32 v173, v23, v173                              // 000000004BB4: 0B5B5B17
	v_mul_f32_e32 v174, v23, v174                              // 000000004BB8: 0B5D5D17
	v_mul_f32_e32 v175, v23, v175                              // 000000004BBC: 0B5F5F17
	v_mul_f32_dpp v172, v11, v172 row_newbcast:12 row_mask:0xf bank_mask:0xf// 000000004BC0: 0B5958FA FF015C0B
	v_mul_f32_dpp v173, v11, v173 row_newbcast:13 row_mask:0xf bank_mask:0xf// 000000004BC8: 0B5B5AFA FF015D0B
	v_mul_f32_dpp v174, v11, v174 row_newbcast:14 row_mask:0xf bank_mask:0xf// 000000004BD0: 0B5D5CFA FF015E0B
	v_mul_f32_dpp v175, v11, v175 row_newbcast:15 row_mask:0xf bank_mask:0xf// 000000004BD8: 0B5F5EFA FF015F0B
	v_mul_f32_e32 v172, v18, v172                              // 000000004BE0: 0B595912
	v_mul_f32_e32 v173, v18, v173                              // 000000004BE4: 0B5B5B12
	v_mul_f32_e32 v174, v18, v174                              // 000000004BE8: 0B5D5D12
	v_mul_f32_e32 v175, v18, v175                              // 000000004BEC: 0B5F5F12
	v_cvt_pkrtz_f16_f32 v144, v144, v145                       // 000000004BF0: D2960090 00032390
	v_cvt_pkrtz_f16_f32 v145, v146, v147                       // 000000004BF8: D2960091 00032792
	v_cvt_pkrtz_f16_f32 v146, v148, v149                       // 000000004C00: D2960092 00032B94
	v_cvt_pkrtz_f16_f32 v147, v150, v151                       // 000000004C08: D2960093 00032F96
	v_cvt_pkrtz_f16_f32 v148, v152, v153                       // 000000004C10: D2960094 00033398
	v_cvt_pkrtz_f16_f32 v149, v154, v155                       // 000000004C18: D2960095 0003379A
	v_cvt_pkrtz_f16_f32 v150, v156, v157                       // 000000004C20: D2960096 00033B9C
	v_cvt_pkrtz_f16_f32 v151, v158, v159                       // 000000004C28: D2960097 00033F9E
	v_cvt_pkrtz_f16_f32 v152, v160, v161                       // 000000004C30: D2960098 000343A0
	v_cvt_pkrtz_f16_f32 v153, v162, v163                       // 000000004C38: D2960099 000347A2
	v_cvt_pkrtz_f16_f32 v154, v164, v165                       // 000000004C40: D296009A 00034BA4
	v_cvt_pkrtz_f16_f32 v155, v166, v167                       // 000000004C48: D296009B 00034FA6
	v_cvt_pkrtz_f16_f32 v156, v168, v169                       // 000000004C50: D296009C 000353A8
	v_cvt_pkrtz_f16_f32 v157, v170, v171                       // 000000004C58: D296009D 000357AA
	v_cvt_pkrtz_f16_f32 v158, v172, v173                       // 000000004C60: D296009E 00035BAC
	v_cvt_pkrtz_f16_f32 v159, v174, v175                       // 000000004C68: D296009F 00035FAE
	ds_write_b64 v3, v[144:145] offset:22784                   // 000000004C70: D89A5900 00009003
	ds_write_b64 v3, v[146:147] offset:31488                   // 000000004C78: D89A7B00 00009203
	ds_write_b64 v3, v[148:149] offset:24960                   // 000000004C80: D89A6180 00009403
	ds_write_b64 v3, v[150:151] offset:33664                   // 000000004C88: D89A8380 00009603
	ds_write_b64 v3, v[152:153] offset:27136                   // 000000004C90: D89A6A00 00009803
	ds_write_b64 v3, v[154:155] offset:35840                   // 000000004C98: D89A8C00 00009A03
	ds_write_b64 v3, v[156:157] offset:29312                   // 000000004CA0: D89A7280 00009C03
	ds_write_b64 v3, v[158:159] offset:38016                   // 000000004CA8: D89A9480 00009E03
	s_waitcnt lgkmcnt(0)                                       // 000000004CB0: BF8CC07F
	s_barrier                                                  // 000000004CB4: BF8A0000
	ds_read_b32 v64, v4 offset:22784                           // 000000004CB8: D86C5900 40000004
	ds_read_b32 v65, v4 offset:27136                           // 000000004CC0: D86C6A00 41000004
	ds_read_b32 v66, v4 offset:22816                           // 000000004CC8: D86C5920 42000004
	ds_read_b32 v67, v4 offset:27168                           // 000000004CD0: D86C6A20 43000004
	ds_read_b32 v68, v4 offset:22848                           // 000000004CD8: D86C5940 44000004
	ds_read_b32 v69, v4 offset:27200                           // 000000004CE0: D86C6A40 45000004
	ds_read_b32 v70, v4 offset:22880                           // 000000004CE8: D86C5960 46000004
	ds_read_b32 v71, v4 offset:27232                           // 000000004CF0: D86C6A60 47000004
	ds_read_b32 v72, v4 offset:31488                           // 000000004CF8: D86C7B00 48000004
	ds_read_b32 v73, v4 offset:35840                           // 000000004D00: D86C8C00 49000004
	ds_read_b32 v74, v4 offset:31520                           // 000000004D08: D86C7B20 4A000004
	ds_read_b32 v75, v4 offset:35872                           // 000000004D10: D86C8C20 4B000004
	ds_read_b32 v76, v4 offset:31552                           // 000000004D18: D86C7B40 4C000004
	ds_read_b32 v77, v4 offset:35904                           // 000000004D20: D86C8C40 4D000004
	ds_read_b32 v78, v4 offset:31584                           // 000000004D28: D86C7B60 4E000004
	ds_read_b32 v79, v4 offset:35936                           // 000000004D30: D86C8C60 4F000004
	s_waitcnt lgkmcnt(0)                                       // 000000004D38: BF8CC07F
	s_mov_b64 exec, s[20:21]                                   // 000000004D3C: BEFE0114
	global_atomic_pk_add_f16 v80, v64, s[8:9]                  // 000000004D40: DD388000 00084050
	s_mov_b64 exec, s[36:37]                                   // 000000004D48: BEFE0124
	s_mov_b64 exec, s[20:21]                                   // 000000004D4C: BEFE0114
	global_atomic_pk_add_f16 v80, v65, s[8:9] offset:256       // 000000004D50: DD388100 00084150
	s_mov_b64 exec, s[36:37]                                   // 000000004D58: BEFE0124
	s_mov_b64 exec, s[22:23]                                   // 000000004D5C: BEFE0116
	global_atomic_pk_add_f16 v82, v66, s[8:9]                  // 000000004D60: DD388000 00084252
	s_mov_b64 exec, s[36:37]                                   // 000000004D68: BEFE0124
	s_mov_b64 exec, s[22:23]                                   // 000000004D6C: BEFE0116
	global_atomic_pk_add_f16 v82, v67, s[8:9] offset:256       // 000000004D70: DD388100 00084352
	s_mov_b64 exec, s[36:37]                                   // 000000004D78: BEFE0124
	s_mov_b64 exec, s[24:25]                                   // 000000004D7C: BEFE0118
	global_atomic_pk_add_f16 v84, v68, s[8:9]                  // 000000004D80: DD388000 00084454
	s_mov_b64 exec, s[36:37]                                   // 000000004D88: BEFE0124
	s_mov_b64 exec, s[24:25]                                   // 000000004D8C: BEFE0118
	global_atomic_pk_add_f16 v84, v69, s[8:9] offset:256       // 000000004D90: DD388100 00084554
	s_mov_b64 exec, s[36:37]                                   // 000000004D98: BEFE0124
	s_mov_b64 exec, s[26:27]                                   // 000000004D9C: BEFE011A
	global_atomic_pk_add_f16 v86, v70, s[8:9]                  // 000000004DA0: DD388000 00084656
	s_mov_b64 exec, s[36:37]                                   // 000000004DA8: BEFE0124
	s_mov_b64 exec, s[26:27]                                   // 000000004DAC: BEFE011A
	global_atomic_pk_add_f16 v86, v71, s[8:9] offset:256       // 000000004DB0: DD388100 00084756
	s_mov_b64 exec, s[36:37]                                   // 000000004DB8: BEFE0124
	s_mov_b64 exec, s[28:29]                                   // 000000004DBC: BEFE011C
	global_atomic_pk_add_f16 v88, v72, s[8:9]                  // 000000004DC0: DD388000 00084858
	s_mov_b64 exec, s[36:37]                                   // 000000004DC8: BEFE0124
	s_mov_b64 exec, s[28:29]                                   // 000000004DCC: BEFE011C
	global_atomic_pk_add_f16 v88, v73, s[8:9] offset:256       // 000000004DD0: DD388100 00084958
	s_mov_b64 exec, s[36:37]                                   // 000000004DD8: BEFE0124
	s_mov_b64 exec, s[30:31]                                   // 000000004DDC: BEFE011E
	global_atomic_pk_add_f16 v90, v74, s[8:9]                  // 000000004DE0: DD388000 00084A5A
	s_mov_b64 exec, s[36:37]                                   // 000000004DE8: BEFE0124
	s_mov_b64 exec, s[30:31]                                   // 000000004DEC: BEFE011E
	global_atomic_pk_add_f16 v90, v75, s[8:9] offset:256       // 000000004DF0: DD388100 00084B5A
	s_mov_b64 exec, s[36:37]                                   // 000000004DF8: BEFE0124
	s_mov_b64 exec, s[32:33]                                   // 000000004DFC: BEFE0120
	global_atomic_pk_add_f16 v92, v76, s[8:9]                  // 000000004E00: DD388000 00084C5C
	s_mov_b64 exec, s[36:37]                                   // 000000004E08: BEFE0124
	s_mov_b64 exec, s[32:33]                                   // 000000004E0C: BEFE0120
	global_atomic_pk_add_f16 v92, v77, s[8:9] offset:256       // 000000004E10: DD388100 00084D5C
	s_mov_b64 exec, s[36:37]                                   // 000000004E18: BEFE0124
	s_mov_b64 exec, s[34:35]                                   // 000000004E1C: BEFE0122
	global_atomic_pk_add_f16 v94, v78, s[8:9]                  // 000000004E20: DD388000 00084E5E
	s_mov_b64 exec, s[36:37]                                   // 000000004E28: BEFE0124
	s_mov_b64 exec, s[34:35]                                   // 000000004E2C: BEFE0122
	global_atomic_pk_add_f16 v94, v79, s[8:9] offset:256       // 000000004E30: DD388100 00084F5E
	s_mov_b64 exec, s[36:37]                                   // 000000004E38: BEFE0124
	s_add_u32 s8, s59, s8                                      // 000000004E3C: 8008083B
	s_addc_u32 s9, 0, s9                                       // 000000004E40: 82090980
	s_addk_i32 s80, 0x100                                      // 000000004E44: B7500100
	s_cmp_lt_i32 s80, s81                                      // 000000004E48: BF045150
	s_cbranch_scc0 label_098E                                  // 000000004E4C: BF84017A
	s_waitcnt vmcnt(21)                                        // 000000004E50: BF8C4F75
	s_barrier                                                  // 000000004E54: BF8A0000
	v_mfma_f32_16x16x32_fp8_fp8 v[176:179], a[32:33], v[128:129], 0// 000000004E58: D3F300B0 0A030120
	v_mfma_f32_16x16x32_fp8_fp8 v[176:179], a[34:35], v[130:131], v[176:179]// 000000004E60: D3F300B0 0EC30522
	buffer_load_dwordx4 a[0:3], v34, s[12:15], 0 offen         // 000000004E68: E05C1000 80830022
	v_mfma_f32_16x16x32_fp8_fp8 v[180:183], a[32:33], v[136:137], 0// 000000004E70: D3F300B4 0A031120
	v_mfma_f32_16x16x32_fp8_fp8 v[180:183], a[34:35], v[138:139], v[180:183]// 000000004E78: D3F300B4 0ED31522
	v_mfma_f32_16x16x32_fp8_fp8 v[184:187], a[36:37], v[128:129], 0// 000000004E80: D3F300B8 0A030124
	v_mfma_f32_16x16x32_fp8_fp8 v[184:187], a[38:39], v[130:131], v[184:187]// 000000004E88: D3F300B8 0EE30526
	buffer_load_dwordx4 a[4:7], v35, s[12:15], 0 offen         // 000000004E90: E05C1000 80830423
	v_mfma_f32_16x16x32_fp8_fp8 v[188:191], a[36:37], v[136:137], 0// 000000004E98: D3F300BC 0A031124
	v_mfma_f32_16x16x32_fp8_fp8 v[188:191], a[38:39], v[138:139], v[188:191]// 000000004EA0: D3F300BC 0EF31526
	v_mfma_f32_16x16x32_fp8_fp8 v[192:195], a[40:41], v[128:129], 0// 000000004EA8: D3F300C0 0A030128
	v_mfma_f32_16x16x32_fp8_fp8 v[192:195], a[42:43], v[130:131], v[192:195]// 000000004EB0: D3F300C0 0F03052A
	buffer_load_dwordx4 a[8:11], v36, s[12:15], 0 offen        // 000000004EB8: E05C1000 80830824
	v_mfma_f32_16x16x32_fp8_fp8 v[196:199], a[40:41], v[136:137], 0// 000000004EC0: D3F300C4 0A031128
	v_mfma_f32_16x16x32_fp8_fp8 v[196:199], a[42:43], v[138:139], v[196:199]// 000000004EC8: D3F300C4 0F13152A
	v_mfma_f32_16x16x32_fp8_fp8 v[200:203], a[44:45], v[128:129], 0// 000000004ED0: D3F300C8 0A03012C
	v_mfma_f32_16x16x32_fp8_fp8 v[200:203], a[46:47], v[130:131], v[200:203]// 000000004ED8: D3F300C8 0F23052E
	buffer_load_dwordx4 a[12:15], v37, s[12:15], 0 offen       // 000000004EE0: E05C1000 80830C25
	s_add_u32 s12, s78, s12                                    // 000000004EE8: 800C0C4E
	s_addc_u32 s13, 0, s13                                     // 000000004EEC: 820D0D80
	v_mfma_f32_16x16x32_fp8_fp8 v[204:207], a[44:45], v[136:137], 0// 000000004EF0: D3F300CC 0A03112C
	v_mfma_f32_16x16x32_fp8_fp8 v[204:207], a[46:47], v[138:139], v[204:207]// 000000004EF8: D3F300CC 0F33152E
	s_waitcnt vmcnt(20)                                        // 000000004F00: BF8C4F74
	v_mfma_f32_16x16x32_fp8_fp8 v[176:179], a[48:49], v[132:133], v[176:179]// 000000004F04: D3F300B0 0EC30930
	v_mfma_f32_16x16x32_fp8_fp8 v[176:179], a[50:51], v[134:135], v[176:179]// 000000004F0C: D3F300B0 0EC30D32
	buffer_load_dwordx4 a[16:19], v34, s[12:15], 0 offen       // 000000004F14: E05C1000 80831022
	v_mfma_f32_16x16x32_fp8_fp8 v[180:183], a[48:49], v[140:141], v[180:183]// 000000004F1C: D3F300B4 0ED31930
	v_mfma_f32_16x16x32_fp8_fp8 v[180:183], a[50:51], v[142:143], v[180:183]// 000000004F24: D3F300B4 0ED31D32
	buffer_load_dword v11, v5, s[16:19], 0 offen               // 000000004F2C: E0501000 80040B05
	v_mfma_f32_16x16x32_fp8_fp8 v[184:187], a[52:53], v[132:133], v[184:187]// 000000004F34: D3F300B8 0EE30934
	v_mfma_f32_16x16x32_fp8_fp8 v[184:187], a[54:55], v[134:135], v[184:187]// 000000004F3C: D3F300B8 0EE30D36
	buffer_load_dwordx4 a[20:23], v35, s[12:15], 0 offen       // 000000004F44: E05C1000 80831423
	v_mfma_f32_16x16x32_fp8_fp8 v[188:191], a[52:53], v[140:141], v[188:191]// 000000004F4C: D3F300BC 0EF31934
	v_mfma_f32_16x16x32_fp8_fp8 v[188:191], a[54:55], v[142:143], v[188:191]// 000000004F54: D3F300BC 0EF31D36
	v_mfma_f32_16x16x32_fp8_fp8 v[192:195], a[56:57], v[132:133], v[192:195]// 000000004F5C: D3F300C0 0F030938
	v_mfma_f32_16x16x32_fp8_fp8 v[192:195], a[58:59], v[134:135], v[192:195]// 000000004F64: D3F300C0 0F030D3A
	buffer_load_dwordx4 a[24:27], v36, s[12:15], 0 offen       // 000000004F6C: E05C1000 80831824
	v_mfma_f32_16x16x32_fp8_fp8 v[196:199], a[56:57], v[140:141], v[196:199]// 000000004F74: D3F300C4 0F131938
	v_mfma_f32_16x16x32_fp8_fp8 v[196:199], a[58:59], v[142:143], v[196:199]// 000000004F7C: D3F300C4 0F131D3A
	v_mfma_f32_16x16x32_fp8_fp8 v[200:203], a[60:61], v[132:133], v[200:203]// 000000004F84: D3F300C8 0F23093C
	v_mfma_f32_16x16x32_fp8_fp8 v[200:203], a[62:63], v[134:135], v[200:203]// 000000004F8C: D3F300C8 0F230D3E
	buffer_load_dwordx4 a[28:31], v37, s[12:15], 0 offen       // 000000004F94: E05C1000 80831C25
	v_mfma_f32_16x16x32_fp8_fp8 v[204:207], a[60:61], v[140:141], v[204:207]// 000000004F9C: D3F300CC 0F33193C
	v_mfma_f32_16x16x32_fp8_fp8 v[204:207], a[62:63], v[142:143], v[204:207]// 000000004FA4: D3F300CC 0F331D3E
	s_add_u32 s60, 0x200, s80                                  // 000000004FAC: 803C50FF 00000200
	s_cmp_lt_u32 s60, s81                                      // 000000004FB4: BF0A513C
	s_cselect_b32 s56, s56, 0                                  // 000000004FB8: 85388038
	s_cselect_b32 s78, s78, 0                                  // 000000004FBC: 854E804E
	s_cselect_b32 s79, s79, 0                                  // 000000004FC0: 854F804F
	s_add_u32 s12, s56, s12                                    // 000000004FC4: 800C0C38
	s_addc_u32 s13, 0, s13                                     // 000000004FC8: 820D0D80
	s_add_u32 s16, s79, s16                                    // 000000004FCC: 8010104F
	s_addc_u32 s17, 0, s17                                     // 000000004FD0: 82111180
	v_mul_f32_e32 v176, v22, v176                              // 000000004FD4: 0B616116
	v_mul_f32_e32 v177, v22, v177                              // 000000004FD8: 0B636316
	v_mul_f32_e32 v178, v22, v178                              // 000000004FDC: 0B656516
	v_mul_f32_e32 v179, v22, v179                              // 000000004FE0: 0B676716
	v_mul_f32_dpp v176, v12, v176 row_newbcast:0 row_mask:0xf bank_mask:0xf// 000000004FE4: 0B6160FA FF01500C
	v_mul_f32_dpp v177, v12, v177 row_newbcast:1 row_mask:0xf bank_mask:0xf// 000000004FEC: 0B6362FA FF01510C
	v_mul_f32_dpp v178, v12, v178 row_newbcast:2 row_mask:0xf bank_mask:0xf// 000000004FF4: 0B6564FA FF01520C
	v_mul_f32_dpp v179, v12, v179 row_newbcast:3 row_mask:0xf bank_mask:0xf// 000000004FFC: 0B6766FA FF01530C
	v_mul_f32_e32 v176, v17, v176                              // 000000005004: 0B616111
	v_mul_f32_e32 v177, v17, v177                              // 000000005008: 0B636311
	v_mul_f32_e32 v178, v17, v178                              // 00000000500C: 0B656511
	v_mul_f32_e32 v179, v17, v179                              // 000000005010: 0B676711
	v_mul_f32_e32 v180, v23, v180                              // 000000005014: 0B696917
	v_mul_f32_e32 v181, v23, v181                              // 000000005018: 0B6B6B17
	v_mul_f32_e32 v182, v23, v182                              // 00000000501C: 0B6D6D17
	v_mul_f32_e32 v183, v23, v183                              // 000000005020: 0B6F6F17
	v_mul_f32_dpp v180, v12, v180 row_newbcast:0 row_mask:0xf bank_mask:0xf// 000000005024: 0B6968FA FF01500C
	v_mul_f32_dpp v181, v12, v181 row_newbcast:1 row_mask:0xf bank_mask:0xf// 00000000502C: 0B6B6AFA FF01510C
	v_mul_f32_dpp v182, v12, v182 row_newbcast:2 row_mask:0xf bank_mask:0xf// 000000005034: 0B6D6CFA FF01520C
	v_mul_f32_dpp v183, v12, v183 row_newbcast:3 row_mask:0xf bank_mask:0xf// 00000000503C: 0B6F6EFA FF01530C
	v_mul_f32_e32 v180, v18, v180                              // 000000005044: 0B696912
	v_mul_f32_e32 v181, v18, v181                              // 000000005048: 0B6B6B12
	v_mul_f32_e32 v182, v18, v182                              // 00000000504C: 0B6D6D12
	v_mul_f32_e32 v183, v18, v183                              // 000000005050: 0B6F6F12
	v_mul_f32_e32 v184, v22, v184                              // 000000005054: 0B717116
	v_mul_f32_e32 v185, v22, v185                              // 000000005058: 0B737316
	v_mul_f32_e32 v186, v22, v186                              // 00000000505C: 0B757516
	v_mul_f32_e32 v187, v22, v187                              // 000000005060: 0B777716
	v_mul_f32_dpp v184, v12, v184 row_newbcast:4 row_mask:0xf bank_mask:0xf// 000000005064: 0B7170FA FF01540C
	v_mul_f32_dpp v185, v12, v185 row_newbcast:5 row_mask:0xf bank_mask:0xf// 00000000506C: 0B7372FA FF01550C
	v_mul_f32_dpp v186, v12, v186 row_newbcast:6 row_mask:0xf bank_mask:0xf// 000000005074: 0B7574FA FF01560C
	v_mul_f32_dpp v187, v12, v187 row_newbcast:7 row_mask:0xf bank_mask:0xf// 00000000507C: 0B7776FA FF01570C
	v_mul_f32_e32 v184, v17, v184                              // 000000005084: 0B717111
	v_mul_f32_e32 v185, v17, v185                              // 000000005088: 0B737311
	v_mul_f32_e32 v186, v17, v186                              // 00000000508C: 0B757511
	v_mul_f32_e32 v187, v17, v187                              // 000000005090: 0B777711
	v_mul_f32_e32 v188, v23, v188                              // 000000005094: 0B797917
	v_mul_f32_e32 v189, v23, v189                              // 000000005098: 0B7B7B17
	v_mul_f32_e32 v190, v23, v190                              // 00000000509C: 0B7D7D17
	v_mul_f32_e32 v191, v23, v191                              // 0000000050A0: 0B7F7F17
	v_mul_f32_dpp v188, v12, v188 row_newbcast:4 row_mask:0xf bank_mask:0xf// 0000000050A4: 0B7978FA FF01540C
	v_mul_f32_dpp v189, v12, v189 row_newbcast:5 row_mask:0xf bank_mask:0xf// 0000000050AC: 0B7B7AFA FF01550C
	v_mul_f32_dpp v190, v12, v190 row_newbcast:6 row_mask:0xf bank_mask:0xf// 0000000050B4: 0B7D7CFA FF01560C
	v_mul_f32_dpp v191, v12, v191 row_newbcast:7 row_mask:0xf bank_mask:0xf// 0000000050BC: 0B7F7EFA FF01570C
	v_mul_f32_e32 v188, v18, v188                              // 0000000050C4: 0B797912
	v_mul_f32_e32 v189, v18, v189                              // 0000000050C8: 0B7B7B12
	v_mul_f32_e32 v190, v18, v190                              // 0000000050CC: 0B7D7D12
	v_mul_f32_e32 v191, v18, v191                              // 0000000050D0: 0B7F7F12
	v_mul_f32_e32 v192, v22, v192                              // 0000000050D4: 0B818116
	v_mul_f32_e32 v193, v22, v193                              // 0000000050D8: 0B838316
	v_mul_f32_e32 v194, v22, v194                              // 0000000050DC: 0B858516
	v_mul_f32_e32 v195, v22, v195                              // 0000000050E0: 0B878716
	v_mul_f32_dpp v192, v12, v192 row_newbcast:8 row_mask:0xf bank_mask:0xf// 0000000050E4: 0B8180FA FF01580C
	v_mul_f32_dpp v193, v12, v193 row_newbcast:9 row_mask:0xf bank_mask:0xf// 0000000050EC: 0B8382FA FF01590C
	v_mul_f32_dpp v194, v12, v194 row_newbcast:10 row_mask:0xf bank_mask:0xf// 0000000050F4: 0B8584FA FF015A0C
	v_mul_f32_dpp v195, v12, v195 row_newbcast:11 row_mask:0xf bank_mask:0xf// 0000000050FC: 0B8786FA FF015B0C
	v_mul_f32_e32 v192, v17, v192                              // 000000005104: 0B818111
	v_mul_f32_e32 v193, v17, v193                              // 000000005108: 0B838311
	v_mul_f32_e32 v194, v17, v194                              // 00000000510C: 0B858511
	v_mul_f32_e32 v195, v17, v195                              // 000000005110: 0B878711
	v_mul_f32_e32 v196, v23, v196                              // 000000005114: 0B898917
	v_mul_f32_e32 v197, v23, v197                              // 000000005118: 0B8B8B17
	v_mul_f32_e32 v198, v23, v198                              // 00000000511C: 0B8D8D17
	v_mul_f32_e32 v199, v23, v199                              // 000000005120: 0B8F8F17
	v_mul_f32_dpp v196, v12, v196 row_newbcast:8 row_mask:0xf bank_mask:0xf// 000000005124: 0B8988FA FF01580C
	v_mul_f32_dpp v197, v12, v197 row_newbcast:9 row_mask:0xf bank_mask:0xf// 00000000512C: 0B8B8AFA FF01590C
	v_mul_f32_dpp v198, v12, v198 row_newbcast:10 row_mask:0xf bank_mask:0xf// 000000005134: 0B8D8CFA FF015A0C
	v_mul_f32_dpp v199, v12, v199 row_newbcast:11 row_mask:0xf bank_mask:0xf// 00000000513C: 0B8F8EFA FF015B0C
	v_mul_f32_e32 v196, v18, v196                              // 000000005144: 0B898912
	v_mul_f32_e32 v197, v18, v197                              // 000000005148: 0B8B8B12
	v_mul_f32_e32 v198, v18, v198                              // 00000000514C: 0B8D8D12
	v_mul_f32_e32 v199, v18, v199                              // 000000005150: 0B8F8F12
	v_mul_f32_e32 v200, v22, v200                              // 000000005154: 0B919116
	v_mul_f32_e32 v201, v22, v201                              // 000000005158: 0B939316
	v_mul_f32_e32 v202, v22, v202                              // 00000000515C: 0B959516
	v_mul_f32_e32 v203, v22, v203                              // 000000005160: 0B979716
	v_mul_f32_dpp v200, v12, v200 row_newbcast:12 row_mask:0xf bank_mask:0xf// 000000005164: 0B9190FA FF015C0C
	v_mul_f32_dpp v201, v12, v201 row_newbcast:13 row_mask:0xf bank_mask:0xf// 00000000516C: 0B9392FA FF015D0C
	v_mul_f32_dpp v202, v12, v202 row_newbcast:14 row_mask:0xf bank_mask:0xf// 000000005174: 0B9594FA FF015E0C
	v_mul_f32_dpp v203, v12, v203 row_newbcast:15 row_mask:0xf bank_mask:0xf// 00000000517C: 0B9796FA FF015F0C
	v_mul_f32_e32 v200, v17, v200                              // 000000005184: 0B919111
	v_mul_f32_e32 v201, v17, v201                              // 000000005188: 0B939311
	v_mul_f32_e32 v202, v17, v202                              // 00000000518C: 0B959511
	v_mul_f32_e32 v203, v17, v203                              // 000000005190: 0B979711
	v_mul_f32_e32 v204, v23, v204                              // 000000005194: 0B999917
	v_mul_f32_e32 v205, v23, v205                              // 000000005198: 0B9B9B17
	v_mul_f32_e32 v206, v23, v206                              // 00000000519C: 0B9D9D17
	v_mul_f32_e32 v207, v23, v207                              // 0000000051A0: 0B9F9F17
	v_mul_f32_dpp v204, v12, v204 row_newbcast:12 row_mask:0xf bank_mask:0xf// 0000000051A4: 0B9998FA FF015C0C
	v_mul_f32_dpp v205, v12, v205 row_newbcast:13 row_mask:0xf bank_mask:0xf// 0000000051AC: 0B9B9AFA FF015D0C
	v_mul_f32_dpp v206, v12, v206 row_newbcast:14 row_mask:0xf bank_mask:0xf// 0000000051B4: 0B9D9CFA FF015E0C
	v_mul_f32_dpp v207, v12, v207 row_newbcast:15 row_mask:0xf bank_mask:0xf// 0000000051BC: 0B9F9EFA FF015F0C
	v_mul_f32_e32 v204, v18, v204                              // 0000000051C4: 0B999912
	v_mul_f32_e32 v205, v18, v205                              // 0000000051C8: 0B9B9B12
	v_mul_f32_e32 v206, v18, v206                              // 0000000051CC: 0B9D9D12
	v_mul_f32_e32 v207, v18, v207                              // 0000000051D0: 0B9F9F12
	v_cvt_pkrtz_f16_f32 v176, v176, v177                       // 0000000051D4: D29600B0 000363B0
	v_cvt_pkrtz_f16_f32 v177, v178, v179                       // 0000000051DC: D29600B1 000367B2
	v_cvt_pkrtz_f16_f32 v178, v180, v181                       // 0000000051E4: D29600B2 00036BB4
	v_cvt_pkrtz_f16_f32 v179, v182, v183                       // 0000000051EC: D29600B3 00036FB6
	v_cvt_pkrtz_f16_f32 v180, v184, v185                       // 0000000051F4: D29600B4 000373B8
	v_cvt_pkrtz_f16_f32 v181, v186, v187                       // 0000000051FC: D29600B5 000377BA
	v_cvt_pkrtz_f16_f32 v182, v188, v189                       // 000000005204: D29600B6 00037BBC
	v_cvt_pkrtz_f16_f32 v183, v190, v191                       // 00000000520C: D29600B7 00037FBE
	v_cvt_pkrtz_f16_f32 v184, v192, v193                       // 000000005214: D29600B8 000383C0
	v_cvt_pkrtz_f16_f32 v185, v194, v195                       // 00000000521C: D29600B9 000387C2
	v_cvt_pkrtz_f16_f32 v186, v196, v197                       // 000000005224: D29600BA 00038BC4
	v_cvt_pkrtz_f16_f32 v187, v198, v199                       // 00000000522C: D29600BB 00038FC6
	v_cvt_pkrtz_f16_f32 v188, v200, v201                       // 000000005234: D29600BC 000393C8
	v_cvt_pkrtz_f16_f32 v189, v202, v203                       // 00000000523C: D29600BD 000397CA
	v_cvt_pkrtz_f16_f32 v190, v204, v205                       // 000000005244: D29600BE 00039BCC
	v_cvt_pkrtz_f16_f32 v191, v206, v207                       // 00000000524C: D29600BF 00039FCE
	ds_write_b64 v3, v[176:177] offset:22784                   // 000000005254: D89A5900 0000B003
	ds_write_b64 v3, v[178:179] offset:31488                   // 00000000525C: D89A7B00 0000B203
	ds_write_b64 v3, v[180:181] offset:24960                   // 000000005264: D89A6180 0000B403
	ds_write_b64 v3, v[182:183] offset:33664                   // 00000000526C: D89A8380 0000B603
	ds_write_b64 v3, v[184:185] offset:27136                   // 000000005274: D89A6A00 0000B803
	ds_write_b64 v3, v[186:187] offset:35840                   // 00000000527C: D89A8C00 0000BA03
	ds_write_b64 v3, v[188:189] offset:29312                   // 000000005284: D89A7280 0000BC03
	ds_write_b64 v3, v[190:191] offset:38016                   // 00000000528C: D89A9480 0000BE03
	s_waitcnt lgkmcnt(0)                                       // 000000005294: BF8CC07F
	s_barrier                                                  // 000000005298: BF8A0000
	ds_read_b32 v64, v4 offset:22784                           // 00000000529C: D86C5900 40000004
	ds_read_b32 v65, v4 offset:27136                           // 0000000052A4: D86C6A00 41000004
	ds_read_b32 v66, v4 offset:22816                           // 0000000052AC: D86C5920 42000004
	ds_read_b32 v67, v4 offset:27168                           // 0000000052B4: D86C6A20 43000004
	ds_read_b32 v68, v4 offset:22848                           // 0000000052BC: D86C5940 44000004
	ds_read_b32 v69, v4 offset:27200                           // 0000000052C4: D86C6A40 45000004
	ds_read_b32 v70, v4 offset:22880                           // 0000000052CC: D86C5960 46000004
	ds_read_b32 v71, v4 offset:27232                           // 0000000052D4: D86C6A60 47000004
	ds_read_b32 v72, v4 offset:31488                           // 0000000052DC: D86C7B00 48000004
	ds_read_b32 v73, v4 offset:35840                           // 0000000052E4: D86C8C00 49000004
	ds_read_b32 v74, v4 offset:31520                           // 0000000052EC: D86C7B20 4A000004
	ds_read_b32 v75, v4 offset:35872                           // 0000000052F4: D86C8C20 4B000004
	ds_read_b32 v76, v4 offset:31552                           // 0000000052FC: D86C7B40 4C000004
	ds_read_b32 v77, v4 offset:35904                           // 000000005304: D86C8C40 4D000004
	ds_read_b32 v78, v4 offset:31584                           // 00000000530C: D86C7B60 4E000004
	ds_read_b32 v79, v4 offset:35936                           // 000000005314: D86C8C60 4F000004
	s_waitcnt lgkmcnt(0)                                       // 00000000531C: BF8CC07F
	s_mov_b64 exec, s[20:21]                                   // 000000005320: BEFE0114
	global_atomic_pk_add_f16 v80, v64, s[8:9]                  // 000000005324: DD388000 00084050
	s_mov_b64 exec, s[36:37]                                   // 00000000532C: BEFE0124
	s_mov_b64 exec, s[20:21]                                   // 000000005330: BEFE0114
	global_atomic_pk_add_f16 v80, v65, s[8:9] offset:256       // 000000005334: DD388100 00084150
	s_mov_b64 exec, s[36:37]                                   // 00000000533C: BEFE0124
	s_mov_b64 exec, s[22:23]                                   // 000000005340: BEFE0116
	global_atomic_pk_add_f16 v82, v66, s[8:9]                  // 000000005344: DD388000 00084252
	s_mov_b64 exec, s[36:37]                                   // 00000000534C: BEFE0124
	s_mov_b64 exec, s[22:23]                                   // 000000005350: BEFE0116
	global_atomic_pk_add_f16 v82, v67, s[8:9] offset:256       // 000000005354: DD388100 00084352
	s_mov_b64 exec, s[36:37]                                   // 00000000535C: BEFE0124
	s_mov_b64 exec, s[24:25]                                   // 000000005360: BEFE0118
	global_atomic_pk_add_f16 v84, v68, s[8:9]                  // 000000005364: DD388000 00084454
	s_mov_b64 exec, s[36:37]                                   // 00000000536C: BEFE0124
	s_mov_b64 exec, s[24:25]                                   // 000000005370: BEFE0118
	global_atomic_pk_add_f16 v84, v69, s[8:9] offset:256       // 000000005374: DD388100 00084554
	s_mov_b64 exec, s[36:37]                                   // 00000000537C: BEFE0124
	s_mov_b64 exec, s[26:27]                                   // 000000005380: BEFE011A
	global_atomic_pk_add_f16 v86, v70, s[8:9]                  // 000000005384: DD388000 00084656
	s_mov_b64 exec, s[36:37]                                   // 00000000538C: BEFE0124
	s_mov_b64 exec, s[26:27]                                   // 000000005390: BEFE011A
	global_atomic_pk_add_f16 v86, v71, s[8:9] offset:256       // 000000005394: DD388100 00084756
	s_mov_b64 exec, s[36:37]                                   // 00000000539C: BEFE0124
	s_mov_b64 exec, s[28:29]                                   // 0000000053A0: BEFE011C
	global_atomic_pk_add_f16 v88, v72, s[8:9]                  // 0000000053A4: DD388000 00084858
	s_mov_b64 exec, s[36:37]                                   // 0000000053AC: BEFE0124
	s_mov_b64 exec, s[28:29]                                   // 0000000053B0: BEFE011C
	global_atomic_pk_add_f16 v88, v73, s[8:9] offset:256       // 0000000053B4: DD388100 00084958
	s_mov_b64 exec, s[36:37]                                   // 0000000053BC: BEFE0124
	s_mov_b64 exec, s[30:31]                                   // 0000000053C0: BEFE011E
	global_atomic_pk_add_f16 v90, v74, s[8:9]                  // 0000000053C4: DD388000 00084A5A
	s_mov_b64 exec, s[36:37]                                   // 0000000053CC: BEFE0124
	s_mov_b64 exec, s[30:31]                                   // 0000000053D0: BEFE011E
	global_atomic_pk_add_f16 v90, v75, s[8:9] offset:256       // 0000000053D4: DD388100 00084B5A
	s_mov_b64 exec, s[36:37]                                   // 0000000053DC: BEFE0124
	s_mov_b64 exec, s[32:33]                                   // 0000000053E0: BEFE0120
	global_atomic_pk_add_f16 v92, v76, s[8:9]                  // 0000000053E4: DD388000 00084C5C
	s_mov_b64 exec, s[36:37]                                   // 0000000053EC: BEFE0124
	s_mov_b64 exec, s[32:33]                                   // 0000000053F0: BEFE0120
	global_atomic_pk_add_f16 v92, v77, s[8:9] offset:256       // 0000000053F4: DD388100 00084D5C
	s_mov_b64 exec, s[36:37]                                   // 0000000053FC: BEFE0124
	s_mov_b64 exec, s[34:35]                                   // 000000005400: BEFE0122
	global_atomic_pk_add_f16 v94, v78, s[8:9]                  // 000000005404: DD388000 00084E5E
	s_mov_b64 exec, s[36:37]                                   // 00000000540C: BEFE0124
	s_mov_b64 exec, s[34:35]                                   // 000000005410: BEFE0122
	global_atomic_pk_add_f16 v94, v79, s[8:9] offset:256       // 000000005414: DD388100 00084F5E
	s_mov_b64 exec, s[36:37]                                   // 00000000541C: BEFE0124
	s_add_u32 s8, s59, s8                                      // 000000005420: 8008083B
	s_addc_u32 s9, 0, s9                                       // 000000005424: 82090980
	s_addk_i32 s80, 0x100                                      // 000000005428: B7500100
	s_cmp_lt_i32 s80, s81                                      // 00000000542C: BF045150
	s_cbranch_scc0 label_098E                                  // 000000005430: BF840001
	s_branch label_069B                                        // 000000005434: BF82FD0D

0000000000005438 <label_098E>:
	s_nop 0                                                    // 000000005438: BF800000
	s_nop 0                                                    // 00000000543C: BF800000
	s_branch label_1091                                        // 000000005440: BF820700

0000000000005444 <label_0991>:
	s_waitcnt vmcnt(0) lgkmcnt(0)                              // 000000005444: BF8C0070
	s_barrier                                                  // 000000005448: BF8A0000
	v_mfma_f32_16x16x32_fp8_fp8 v[128:131], a[0:1], v[144:145], v[128:131]// 00000000544C: D3F30080 0E032100
	buffer_load_dwordx4 a[32:35], v32, s[92:95], 0 offen       // 000000005454: E05C1000 80972020
	v_mfma_f32_16x16x32_fp8_fp8 v[128:131], a[2:3], v[146:147], v[128:131]// 00000000545C: D3F30080 0E032502
	v_mfma_f32_16x16x32_fp8_fp8 v[128:131], a[4:5], v[148:149], v[128:131]// 000000005464: D3F30080 0E032904
	buffer_load_dword v24, s[20:23], 0 offen lds               // 00000000546C: E0511000 80050018
	s_add_u32 m0, 0x100, s51                                   // 000000005474: 807C33FF 00000100
	v_mfma_f32_16x16x32_fp8_fp8 v[128:131], a[6:7], v[150:151], v[128:131]// 00000000547C: D3F30080 0E032D06
	v_mfma_f32_16x16x32_fp8_fp8 v[128:131], a[8:9], v[152:153], v[128:131]// 000000005484: D3F30080 0E033108
	buffer_load_dwordx4 a[36:39], v32, s[92:95], 0 offen offset:1024// 00000000548C: E05C1400 80972420
	v_mfma_f32_16x16x32_fp8_fp8 v[128:131], a[10:11], v[154:155], v[128:131]// 000000005494: D3F30080 0E03350A
	v_mfma_f32_16x16x32_fp8_fp8 v[128:131], a[12:13], v[156:157], v[128:131]// 00000000549C: D3F30080 0E03390C
	buffer_load_dword v25, s[20:23], 0 offen lds               // 0000000054A4: E0511000 80050019
	s_add_u32 m0, 0x200, s51                                   // 0000000054AC: 807C33FF 00000200
	v_mfma_f32_16x16x32_fp8_fp8 v[128:131], a[14:15], v[158:159], v[128:131]// 0000000054B4: D3F30080 0E033D0E
	v_mfma_f32_16x16x32_fp8_fp8 v[132:135], a[0:1], v[160:161], v[132:135]// 0000000054BC: D3F30084 0E134100
	buffer_load_dwordx4 a[40:43], v32, s[92:95], 0 offen offset:2048// 0000000054C4: E05C1800 80972820
	v_mfma_f32_16x16x32_fp8_fp8 v[132:135], a[2:3], v[162:163], v[132:135]// 0000000054CC: D3F30084 0E134502
	v_mfma_f32_16x16x32_fp8_fp8 v[132:135], a[4:5], v[164:165], v[132:135]// 0000000054D4: D3F30084 0E134904
	buffer_load_dword v26, s[20:23], 0 offen lds               // 0000000054DC: E0511000 8005001A
	s_add_u32 m0, 0x300, s51                                   // 0000000054E4: 807C33FF 00000300
	v_mfma_f32_16x16x32_fp8_fp8 v[132:135], a[6:7], v[166:167], v[132:135]// 0000000054EC: D3F30084 0E134D06
	v_mfma_f32_16x16x32_fp8_fp8 v[132:135], a[8:9], v[168:169], v[132:135]// 0000000054F4: D3F30084 0E135108
	buffer_load_dwordx4 a[44:47], v32, s[92:95], 0 offen offset:3072// 0000000054FC: E05C1C00 80972C20
	v_mfma_f32_16x16x32_fp8_fp8 v[132:135], a[10:11], v[170:171], v[132:135]// 000000005504: D3F30084 0E13550A
	v_mfma_f32_16x16x32_fp8_fp8 v[132:135], a[12:13], v[172:173], v[132:135]// 00000000550C: D3F30084 0E13590C
	buffer_load_dword v27, s[20:23], 0 offen lds               // 000000005514: E0511000 8005001B
	s_add_u32 m0, 0x400, s51                                   // 00000000551C: 807C33FF 00000400
	v_mfma_f32_16x16x32_fp8_fp8 v[132:135], a[14:15], v[174:175], v[132:135]// 000000005524: D3F30084 0E135D0E
	v_mfma_f32_16x16x32_fp8_fp8 v[136:139], a[16:17], v[144:145], v[136:139]// 00000000552C: D3F30088 0E232110
	buffer_load_dwordx4 a[48:51], v33, s[92:95], 0 offen       // 000000005534: E05C1000 80973021
	v_mfma_f32_16x16x32_fp8_fp8 v[136:139], a[18:19], v[146:147], v[136:139]// 00000000553C: D3F30088 0E232512
	v_mfma_f32_16x16x32_fp8_fp8 v[136:139], a[20:21], v[148:149], v[136:139]// 000000005544: D3F30088 0E232914
	buffer_load_dword v28, s[20:23], 0 offen lds               // 00000000554C: E0511000 8005001C
	s_add_u32 m0, 0x500, s51                                   // 000000005554: 807C33FF 00000500
	v_mfma_f32_16x16x32_fp8_fp8 v[136:139], a[22:23], v[150:151], v[136:139]// 00000000555C: D3F30088 0E232D16
	v_mfma_f32_16x16x32_fp8_fp8 v[136:139], a[24:25], v[152:153], v[136:139]// 000000005564: D3F30088 0E233118
	buffer_load_dwordx4 a[52:55], v33, s[92:95], 0 offen offset:1024// 00000000556C: E05C1400 80973421
	v_mfma_f32_16x16x32_fp8_fp8 v[136:139], a[26:27], v[154:155], v[136:139]// 000000005574: D3F30088 0E23351A
	v_mfma_f32_16x16x32_fp8_fp8 v[136:139], a[28:29], v[156:157], v[136:139]// 00000000557C: D3F30088 0E23391C
	buffer_load_dword v29, s[20:23], 0 offen lds               // 000000005584: E0511000 8005001D
	s_add_u32 m0, 0x600, s51                                   // 00000000558C: 807C33FF 00000600
	v_mfma_f32_16x16x32_fp8_fp8 v[136:139], a[30:31], v[158:159], v[136:139]// 000000005594: D3F30088 0E233D1E
	v_mfma_f32_16x16x32_fp8_fp8 v[140:143], a[16:17], v[160:161], v[140:143]// 00000000559C: D3F3008C 0E334110
	buffer_load_dwordx4 a[56:59], v33, s[92:95], 0 offen offset:2048// 0000000055A4: E05C1800 80973821
	v_mfma_f32_16x16x32_fp8_fp8 v[140:143], a[18:19], v[162:163], v[140:143]// 0000000055AC: D3F3008C 0E334512
	v_mfma_f32_16x16x32_fp8_fp8 v[140:143], a[20:21], v[164:165], v[140:143]// 0000000055B4: D3F3008C 0E334914
	buffer_load_dword v30, s[20:23], 0 offen lds               // 0000000055BC: E0511000 8005001E
	s_add_u32 m0, 0x700, s51                                   // 0000000055C4: 807C33FF 00000700
	v_mfma_f32_16x16x32_fp8_fp8 v[140:143], a[22:23], v[166:167], v[140:143]// 0000000055CC: D3F3008C 0E334D16
	v_mfma_f32_16x16x32_fp8_fp8 v[140:143], a[24:25], v[168:169], v[140:143]// 0000000055D4: D3F3008C 0E335118
	buffer_load_dwordx4 a[60:63], v33, s[92:95], 0 offen offset:3072// 0000000055DC: E05C1C00 80973C21
	v_mfma_f32_16x16x32_fp8_fp8 v[140:143], a[26:27], v[170:171], v[140:143]// 0000000055E4: D3F3008C 0E33551A
	v_mfma_f32_16x16x32_fp8_fp8 v[140:143], a[28:29], v[172:173], v[140:143]// 0000000055EC: D3F3008C 0E33591C
	buffer_load_dword v31, s[20:23], 0 offen lds               // 0000000055F4: E0511000 8005001F
	s_add_u32 m0, 0, s50                                       // 0000000055FC: 807C3280
	v_mfma_f32_16x16x32_fp8_fp8 v[140:143], a[30:31], v[174:175], v[140:143]// 000000005600: D3F3008C 0E335D1E
	s_waitcnt vmcnt(0)                                         // 000000005608: BF8C0F70
	s_barrier                                                  // 00000000560C: BF8A0000
	v_mfma_f32_16x16x32_fp8_fp8 v[64:67], a[32:33], v[144:145], v[64:67]// 000000005610: D3F30040 0D032120
	buffer_load_dwordx4 a[0:3], v32, s[24:27], 0 offen         // 000000005618: E05C1000 80860020
	v_mfma_f32_16x16x32_fp8_fp8 v[64:67], a[34:35], v[146:147], v[64:67]// 000000005620: D3F30040 0D032522
	v_mfma_f32_16x16x32_fp8_fp8 v[64:67], a[36:37], v[148:149], v[64:67]// 000000005628: D3F30040 0D032924
	ds_read_b128 v[176:179], v2 offset:8320                    // 000000005630: D9FE2080 B0000002
	v_mfma_f32_16x16x32_fp8_fp8 v[64:67], a[38:39], v[150:151], v[64:67]// 000000005638: D3F30040 0D032D26
	v_mfma_f32_16x16x32_fp8_fp8 v[64:67], a[40:41], v[152:153], v[64:67]// 000000005640: D3F30040 0D033128
	buffer_load_dwordx4 a[4:7], v32, s[24:27], 0 offen offset:1024// 000000005648: E05C1400 80860420
	v_mfma_f32_16x16x32_fp8_fp8 v[64:67], a[42:43], v[154:155], v[64:67]// 000000005650: D3F30040 0D03352A
	v_mfma_f32_16x16x32_fp8_fp8 v[64:67], a[44:45], v[156:157], v[64:67]// 000000005658: D3F30040 0D03392C
	ds_read_b128 v[180:183], v2 offset:8384                    // 000000005660: D9FE20C0 B4000002
	v_mfma_f32_16x16x32_fp8_fp8 v[64:67], a[46:47], v[158:159], v[64:67]// 000000005668: D3F30040 0D033D2E
	v_mfma_f32_16x16x32_fp8_fp8 v[68:71], a[32:33], v[160:161], v[68:71]// 000000005670: D3F30044 0D134120
	buffer_load_dwordx4 a[8:11], v32, s[24:27], 0 offen offset:2048// 000000005678: E05C1800 80860820
	v_mfma_f32_16x16x32_fp8_fp8 v[68:71], a[34:35], v[162:163], v[68:71]// 000000005680: D3F30044 0D134522
	v_mfma_f32_16x16x32_fp8_fp8 v[68:71], a[36:37], v[164:165], v[68:71]// 000000005688: D3F30044 0D134924
	ds_read_b128 v[184:187], v2 offset:8448                    // 000000005690: D9FE2100 B8000002
	v_mfma_f32_16x16x32_fp8_fp8 v[68:71], a[38:39], v[166:167], v[68:71]// 000000005698: D3F30044 0D134D26
	v_mfma_f32_16x16x32_fp8_fp8 v[68:71], a[40:41], v[168:169], v[68:71]// 0000000056A0: D3F30044 0D135128
	buffer_load_dwordx4 a[12:15], v32, s[24:27], 0 offen offset:3072// 0000000056A8: E05C1C00 80860C20
	v_mfma_f32_16x16x32_fp8_fp8 v[68:71], a[42:43], v[170:171], v[68:71]// 0000000056B0: D3F30044 0D13552A
	v_mfma_f32_16x16x32_fp8_fp8 v[68:71], a[44:45], v[172:173], v[68:71]// 0000000056B8: D3F30044 0D13592C
	ds_read_b128 v[188:191], v2 offset:8512                    // 0000000056C0: D9FE2140 BC000002
	v_mfma_f32_16x16x32_fp8_fp8 v[68:71], a[46:47], v[174:175], v[68:71]// 0000000056C8: D3F30044 0D135D2E
	v_mfma_f32_16x16x32_fp8_fp8 v[72:75], a[48:49], v[144:145], v[72:75]// 0000000056D0: D3F30048 0D232130
	buffer_load_dwordx4 a[16:19], v33, s[24:27], 0 offen       // 0000000056D8: E05C1000 80861021
	v_mfma_f32_16x16x32_fp8_fp8 v[72:75], a[50:51], v[146:147], v[72:75]// 0000000056E0: D3F30048 0D232532
	v_mfma_f32_16x16x32_fp8_fp8 v[72:75], a[52:53], v[148:149], v[72:75]// 0000000056E8: D3F30048 0D232934
	ds_read_b128 v[192:195], v2 offset:9344                    // 0000000056F0: D9FE2480 C0000002
	v_mfma_f32_16x16x32_fp8_fp8 v[72:75], a[54:55], v[150:151], v[72:75]// 0000000056F8: D3F30048 0D232D36
	v_mfma_f32_16x16x32_fp8_fp8 v[72:75], a[56:57], v[152:153], v[72:75]// 000000005700: D3F30048 0D233138
	buffer_load_dwordx4 a[20:23], v33, s[24:27], 0 offen offset:1024// 000000005708: E05C1400 80861421
	v_mfma_f32_16x16x32_fp8_fp8 v[72:75], a[58:59], v[154:155], v[72:75]// 000000005710: D3F30048 0D23353A
	v_mfma_f32_16x16x32_fp8_fp8 v[72:75], a[60:61], v[156:157], v[72:75]// 000000005718: D3F30048 0D23393C
	ds_read_b128 v[196:199], v2 offset:9408                    // 000000005720: D9FE24C0 C4000002
	v_mfma_f32_16x16x32_fp8_fp8 v[72:75], a[62:63], v[158:159], v[72:75]// 000000005728: D3F30048 0D233D3E
	v_mfma_f32_16x16x32_fp8_fp8 v[76:79], a[48:49], v[160:161], v[76:79]// 000000005730: D3F3004C 0D334130
	buffer_load_dwordx4 a[24:27], v33, s[24:27], 0 offen offset:2048// 000000005738: E05C1800 80861821
	v_mfma_f32_16x16x32_fp8_fp8 v[76:79], a[50:51], v[162:163], v[76:79]// 000000005740: D3F3004C 0D334532
	v_mfma_f32_16x16x32_fp8_fp8 v[76:79], a[52:53], v[164:165], v[76:79]// 000000005748: D3F3004C 0D334934
	ds_read_b128 v[200:203], v2 offset:9472                    // 000000005750: D9FE2500 C8000002
	v_mfma_f32_16x16x32_fp8_fp8 v[76:79], a[54:55], v[166:167], v[76:79]// 000000005758: D3F3004C 0D334D36
	v_mfma_f32_16x16x32_fp8_fp8 v[76:79], a[56:57], v[168:169], v[76:79]// 000000005760: D3F3004C 0D335138
	buffer_load_dwordx4 a[28:31], v33, s[24:27], 0 offen offset:3072// 000000005768: E05C1C00 80861C21
	v_mfma_f32_16x16x32_fp8_fp8 v[76:79], a[58:59], v[170:171], v[76:79]// 000000005770: D3F3004C 0D33553A
	v_mfma_f32_16x16x32_fp8_fp8 v[76:79], a[60:61], v[172:173], v[76:79]// 000000005778: D3F3004C 0D33593C
	ds_read_b128 v[204:207], v2 offset:9536                    // 000000005780: D9FE2540 CC000002
	v_mfma_f32_16x16x32_fp8_fp8 v[76:79], a[62:63], v[174:175], v[76:79]// 000000005788: D3F3004C 0D335D3E
	s_add_u32 s60, 0x200, s80                                  // 000000005790: 803C50FF 00000200
	s_cmp_lt_u32 s60, s81                                      // 000000005798: BF0A513C
	s_cselect_b32 s57, s57, 0                                  // 00000000579C: 85398039
	s_add_u32 s60, 0x200, s80                                  // 0000000057A0: 803C50FF 00000200
	s_cmp_lt_u32 s60, s81                                      // 0000000057A8: BF0A513C
	s_cselect_b32 s58, s58, 0                                  // 0000000057AC: 853A803A
	s_add_u32 s20, s57, s20                                    // 0000000057B0: 80141439
	s_addc_u32 s21, 0, s21                                     // 0000000057B4: 82151580
	s_add_u32 s24, s58, s24                                    // 0000000057B8: 8018183A
	s_addc_u32 s25, 0, s25                                     // 0000000057BC: 82191980
	s_add_u32 s92, s90, s92                                    // 0000000057C0: 805C5C5A
	s_addc_u32 s93, 0, s93                                     // 0000000057C4: 825D5D80
	s_addk_i32 s80, 0x100                                      // 0000000057C8: B7500100
	s_cmp_lt_i32 s80, s81                                      // 0000000057CC: BF045150
	s_cbranch_scc0 label_0B5A                                  // 0000000057D0: BF8400E5
	s_waitcnt vmcnt(0) lgkmcnt(0)                              // 0000000057D4: BF8C0070
	s_barrier                                                  // 0000000057D8: BF8A0000
	v_mfma_f32_16x16x32_fp8_fp8 v[128:131], a[0:1], v[176:177], v[128:131]// 0000000057DC: D3F30080 0E036100
	buffer_load_dwordx4 a[32:35], v32, s[92:95], 0 offen       // 0000000057E4: E05C1000 80972020
	v_mfma_f32_16x16x32_fp8_fp8 v[128:131], a[2:3], v[178:179], v[128:131]// 0000000057EC: D3F30080 0E036502
	v_mfma_f32_16x16x32_fp8_fp8 v[128:131], a[4:5], v[180:181], v[128:131]// 0000000057F4: D3F30080 0E036904
	buffer_load_dword v24, s[20:23], 0 offen lds               // 0000000057FC: E0511000 80050018
	s_add_u32 m0, 0x100, s50                                   // 000000005804: 807C32FF 00000100
	v_mfma_f32_16x16x32_fp8_fp8 v[128:131], a[6:7], v[182:183], v[128:131]// 00000000580C: D3F30080 0E036D06
	v_mfma_f32_16x16x32_fp8_fp8 v[128:131], a[8:9], v[184:185], v[128:131]// 000000005814: D3F30080 0E037108
	buffer_load_dwordx4 a[36:39], v32, s[92:95], 0 offen offset:1024// 00000000581C: E05C1400 80972420
	v_mfma_f32_16x16x32_fp8_fp8 v[128:131], a[10:11], v[186:187], v[128:131]// 000000005824: D3F30080 0E03750A
	v_mfma_f32_16x16x32_fp8_fp8 v[128:131], a[12:13], v[188:189], v[128:131]// 00000000582C: D3F30080 0E03790C
	buffer_load_dword v25, s[20:23], 0 offen lds               // 000000005834: E0511000 80050019
	s_add_u32 m0, 0x200, s50                                   // 00000000583C: 807C32FF 00000200
	v_mfma_f32_16x16x32_fp8_fp8 v[128:131], a[14:15], v[190:191], v[128:131]// 000000005844: D3F30080 0E037D0E
	v_mfma_f32_16x16x32_fp8_fp8 v[132:135], a[0:1], v[192:193], v[132:135]// 00000000584C: D3F30084 0E138100
	buffer_load_dwordx4 a[40:43], v32, s[92:95], 0 offen offset:2048// 000000005854: E05C1800 80972820
	v_mfma_f32_16x16x32_fp8_fp8 v[132:135], a[2:3], v[194:195], v[132:135]// 00000000585C: D3F30084 0E138502
	v_mfma_f32_16x16x32_fp8_fp8 v[132:135], a[4:5], v[196:197], v[132:135]// 000000005864: D3F30084 0E138904
	buffer_load_dword v26, s[20:23], 0 offen lds               // 00000000586C: E0511000 8005001A
	s_add_u32 m0, 0x300, s50                                   // 000000005874: 807C32FF 00000300
	v_mfma_f32_16x16x32_fp8_fp8 v[132:135], a[6:7], v[198:199], v[132:135]// 00000000587C: D3F30084 0E138D06
	v_mfma_f32_16x16x32_fp8_fp8 v[132:135], a[8:9], v[200:201], v[132:135]// 000000005884: D3F30084 0E139108
	buffer_load_dwordx4 a[44:47], v32, s[92:95], 0 offen offset:3072// 00000000588C: E05C1C00 80972C20
	v_mfma_f32_16x16x32_fp8_fp8 v[132:135], a[10:11], v[202:203], v[132:135]// 000000005894: D3F30084 0E13950A
	v_mfma_f32_16x16x32_fp8_fp8 v[132:135], a[12:13], v[204:205], v[132:135]// 00000000589C: D3F30084 0E13990C
	buffer_load_dword v27, s[20:23], 0 offen lds               // 0000000058A4: E0511000 8005001B
	s_add_u32 m0, 0x400, s50                                   // 0000000058AC: 807C32FF 00000400
	v_mfma_f32_16x16x32_fp8_fp8 v[132:135], a[14:15], v[206:207], v[132:135]// 0000000058B4: D3F30084 0E139D0E
	v_mfma_f32_16x16x32_fp8_fp8 v[136:139], a[16:17], v[176:177], v[136:139]// 0000000058BC: D3F30088 0E236110
	buffer_load_dwordx4 a[48:51], v33, s[92:95], 0 offen       // 0000000058C4: E05C1000 80973021
	v_mfma_f32_16x16x32_fp8_fp8 v[136:139], a[18:19], v[178:179], v[136:139]// 0000000058CC: D3F30088 0E236512
	v_mfma_f32_16x16x32_fp8_fp8 v[136:139], a[20:21], v[180:181], v[136:139]// 0000000058D4: D3F30088 0E236914
	buffer_load_dword v28, s[20:23], 0 offen lds               // 0000000058DC: E0511000 8005001C
	s_add_u32 m0, 0x500, s50                                   // 0000000058E4: 807C32FF 00000500
	v_mfma_f32_16x16x32_fp8_fp8 v[136:139], a[22:23], v[182:183], v[136:139]// 0000000058EC: D3F30088 0E236D16
	v_mfma_f32_16x16x32_fp8_fp8 v[136:139], a[24:25], v[184:185], v[136:139]// 0000000058F4: D3F30088 0E237118
	buffer_load_dwordx4 a[52:55], v33, s[92:95], 0 offen offset:1024// 0000000058FC: E05C1400 80973421
	v_mfma_f32_16x16x32_fp8_fp8 v[136:139], a[26:27], v[186:187], v[136:139]// 000000005904: D3F30088 0E23751A
	v_mfma_f32_16x16x32_fp8_fp8 v[136:139], a[28:29], v[188:189], v[136:139]// 00000000590C: D3F30088 0E23791C
	buffer_load_dword v29, s[20:23], 0 offen lds               // 000000005914: E0511000 8005001D
	s_add_u32 m0, 0x600, s50                                   // 00000000591C: 807C32FF 00000600
	v_mfma_f32_16x16x32_fp8_fp8 v[136:139], a[30:31], v[190:191], v[136:139]// 000000005924: D3F30088 0E237D1E
	v_mfma_f32_16x16x32_fp8_fp8 v[140:143], a[16:17], v[192:193], v[140:143]// 00000000592C: D3F3008C 0E338110
	buffer_load_dwordx4 a[56:59], v33, s[92:95], 0 offen offset:2048// 000000005934: E05C1800 80973821
	v_mfma_f32_16x16x32_fp8_fp8 v[140:143], a[18:19], v[194:195], v[140:143]// 00000000593C: D3F3008C 0E338512
	v_mfma_f32_16x16x32_fp8_fp8 v[140:143], a[20:21], v[196:197], v[140:143]// 000000005944: D3F3008C 0E338914
	buffer_load_dword v30, s[20:23], 0 offen lds               // 00000000594C: E0511000 8005001E
	s_add_u32 m0, 0x700, s50                                   // 000000005954: 807C32FF 00000700
	v_mfma_f32_16x16x32_fp8_fp8 v[140:143], a[22:23], v[198:199], v[140:143]// 00000000595C: D3F3008C 0E338D16
	v_mfma_f32_16x16x32_fp8_fp8 v[140:143], a[24:25], v[200:201], v[140:143]// 000000005964: D3F3008C 0E339118
	buffer_load_dwordx4 a[60:63], v33, s[92:95], 0 offen offset:3072// 00000000596C: E05C1C00 80973C21
	v_mfma_f32_16x16x32_fp8_fp8 v[140:143], a[26:27], v[202:203], v[140:143]// 000000005974: D3F3008C 0E33951A
	v_mfma_f32_16x16x32_fp8_fp8 v[140:143], a[28:29], v[204:205], v[140:143]// 00000000597C: D3F3008C 0E33991C
	buffer_load_dword v31, s[20:23], 0 offen lds               // 000000005984: E0511000 8005001F
	s_add_u32 m0, 0, s51                                       // 00000000598C: 807C3380
	v_mfma_f32_16x16x32_fp8_fp8 v[140:143], a[30:31], v[206:207], v[140:143]// 000000005990: D3F3008C 0E339D1E
	s_waitcnt vmcnt(0)                                         // 000000005998: BF8C0F70
	s_barrier                                                  // 00000000599C: BF8A0000
	v_mfma_f32_16x16x32_fp8_fp8 v[64:67], a[32:33], v[176:177], v[64:67]// 0000000059A0: D3F30040 0D036120
	buffer_load_dwordx4 a[0:3], v32, s[24:27], 0 offen         // 0000000059A8: E05C1000 80860020
	v_mfma_f32_16x16x32_fp8_fp8 v[64:67], a[34:35], v[178:179], v[64:67]// 0000000059B0: D3F30040 0D036522
	v_mfma_f32_16x16x32_fp8_fp8 v[64:67], a[36:37], v[180:181], v[64:67]// 0000000059B8: D3F30040 0D036924
	ds_read_b128 v[144:147], v2                                // 0000000059C0: D9FE0000 90000002
	v_mfma_f32_16x16x32_fp8_fp8 v[64:67], a[38:39], v[182:183], v[64:67]// 0000000059C8: D3F30040 0D036D26
	v_mfma_f32_16x16x32_fp8_fp8 v[64:67], a[40:41], v[184:185], v[64:67]// 0000000059D0: D3F30040 0D037128
	buffer_load_dwordx4 a[4:7], v32, s[24:27], 0 offen offset:1024// 0000000059D8: E05C1400 80860420
	v_mfma_f32_16x16x32_fp8_fp8 v[64:67], a[42:43], v[186:187], v[64:67]// 0000000059E0: D3F30040 0D03752A
	v_mfma_f32_16x16x32_fp8_fp8 v[64:67], a[44:45], v[188:189], v[64:67]// 0000000059E8: D3F30040 0D03792C
	ds_read_b128 v[148:151], v2 offset:64                      // 0000000059F0: D9FE0040 94000002
	v_mfma_f32_16x16x32_fp8_fp8 v[64:67], a[46:47], v[190:191], v[64:67]// 0000000059F8: D3F30040 0D037D2E
	v_mfma_f32_16x16x32_fp8_fp8 v[68:71], a[32:33], v[192:193], v[68:71]// 000000005A00: D3F30044 0D138120
	buffer_load_dwordx4 a[8:11], v32, s[24:27], 0 offen offset:2048// 000000005A08: E05C1800 80860820
	v_mfma_f32_16x16x32_fp8_fp8 v[68:71], a[34:35], v[194:195], v[68:71]// 000000005A10: D3F30044 0D138522
	v_mfma_f32_16x16x32_fp8_fp8 v[68:71], a[36:37], v[196:197], v[68:71]// 000000005A18: D3F30044 0D138924
	ds_read_b128 v[152:155], v2 offset:128                     // 000000005A20: D9FE0080 98000002
	v_mfma_f32_16x16x32_fp8_fp8 v[68:71], a[38:39], v[198:199], v[68:71]// 000000005A28: D3F30044 0D138D26
	v_mfma_f32_16x16x32_fp8_fp8 v[68:71], a[40:41], v[200:201], v[68:71]// 000000005A30: D3F30044 0D139128
	buffer_load_dwordx4 a[12:15], v32, s[24:27], 0 offen offset:3072// 000000005A38: E05C1C00 80860C20
	v_mfma_f32_16x16x32_fp8_fp8 v[68:71], a[42:43], v[202:203], v[68:71]// 000000005A40: D3F30044 0D13952A
	v_mfma_f32_16x16x32_fp8_fp8 v[68:71], a[44:45], v[204:205], v[68:71]// 000000005A48: D3F30044 0D13992C
	ds_read_b128 v[156:159], v2 offset:192                     // 000000005A50: D9FE00C0 9C000002
	v_mfma_f32_16x16x32_fp8_fp8 v[68:71], a[46:47], v[206:207], v[68:71]// 000000005A58: D3F30044 0D139D2E
	v_mfma_f32_16x16x32_fp8_fp8 v[72:75], a[48:49], v[176:177], v[72:75]// 000000005A60: D3F30048 0D236130
	buffer_load_dwordx4 a[16:19], v33, s[24:27], 0 offen       // 000000005A68: E05C1000 80861021
	v_mfma_f32_16x16x32_fp8_fp8 v[72:75], a[50:51], v[178:179], v[72:75]// 000000005A70: D3F30048 0D236532
	v_mfma_f32_16x16x32_fp8_fp8 v[72:75], a[52:53], v[180:181], v[72:75]// 000000005A78: D3F30048 0D236934
	ds_read_b128 v[160:163], v2 offset:1024                    // 000000005A80: D9FE0400 A0000002
	v_mfma_f32_16x16x32_fp8_fp8 v[72:75], a[54:55], v[182:183], v[72:75]// 000000005A88: D3F30048 0D236D36
	v_mfma_f32_16x16x32_fp8_fp8 v[72:75], a[56:57], v[184:185], v[72:75]// 000000005A90: D3F30048 0D237138
	buffer_load_dwordx4 a[20:23], v33, s[24:27], 0 offen offset:1024// 000000005A98: E05C1400 80861421
	v_mfma_f32_16x16x32_fp8_fp8 v[72:75], a[58:59], v[186:187], v[72:75]// 000000005AA0: D3F30048 0D23753A
	v_mfma_f32_16x16x32_fp8_fp8 v[72:75], a[60:61], v[188:189], v[72:75]// 000000005AA8: D3F30048 0D23793C
	ds_read_b128 v[164:167], v2 offset:1088                    // 000000005AB0: D9FE0440 A4000002
	v_mfma_f32_16x16x32_fp8_fp8 v[72:75], a[62:63], v[190:191], v[72:75]// 000000005AB8: D3F30048 0D237D3E
	v_mfma_f32_16x16x32_fp8_fp8 v[76:79], a[48:49], v[192:193], v[76:79]// 000000005AC0: D3F3004C 0D338130
	buffer_load_dwordx4 a[24:27], v33, s[24:27], 0 offen offset:2048// 000000005AC8: E05C1800 80861821
	v_mfma_f32_16x16x32_fp8_fp8 v[76:79], a[50:51], v[194:195], v[76:79]// 000000005AD0: D3F3004C 0D338532
	v_mfma_f32_16x16x32_fp8_fp8 v[76:79], a[52:53], v[196:197], v[76:79]// 000000005AD8: D3F3004C 0D338934
	ds_read_b128 v[168:171], v2 offset:1152                    // 000000005AE0: D9FE0480 A8000002
	v_mfma_f32_16x16x32_fp8_fp8 v[76:79], a[54:55], v[198:199], v[76:79]// 000000005AE8: D3F3004C 0D338D36
	v_mfma_f32_16x16x32_fp8_fp8 v[76:79], a[56:57], v[200:201], v[76:79]// 000000005AF0: D3F3004C 0D339138
	buffer_load_dwordx4 a[28:31], v33, s[24:27], 0 offen offset:3072// 000000005AF8: E05C1C00 80861C21
	v_mfma_f32_16x16x32_fp8_fp8 v[76:79], a[58:59], v[202:203], v[76:79]// 000000005B00: D3F3004C 0D33953A
	v_mfma_f32_16x16x32_fp8_fp8 v[76:79], a[60:61], v[204:205], v[76:79]// 000000005B08: D3F3004C 0D33993C
	ds_read_b128 v[172:175], v2 offset:1216                    // 000000005B10: D9FE04C0 AC000002
	v_mfma_f32_16x16x32_fp8_fp8 v[76:79], a[62:63], v[206:207], v[76:79]// 000000005B18: D3F3004C 0D339D3E
	s_add_u32 s60, 0x200, s80                                  // 000000005B20: 803C50FF 00000200
	s_cmp_lt_u32 s60, s81                                      // 000000005B28: BF0A513C
	s_cselect_b32 s57, s57, 0                                  // 000000005B2C: 85398039
	s_add_u32 s60, 0x200, s80                                  // 000000005B30: 803C50FF 00000200
	s_cmp_lt_u32 s60, s81                                      // 000000005B38: BF0A513C
	s_cselect_b32 s58, s58, 0                                  // 000000005B3C: 853A803A
	s_add_u32 s20, s57, s20                                    // 000000005B40: 80141439
	s_addc_u32 s21, 0, s21                                     // 000000005B44: 82151580
	s_add_u32 s24, s58, s24                                    // 000000005B48: 8018183A
	s_addc_u32 s25, 0, s25                                     // 000000005B4C: 82191980
	s_add_u32 s92, s90, s92                                    // 000000005B50: 805C5C5A
	s_addc_u32 s93, 0, s93                                     // 000000005B54: 825D5D80
	s_addk_i32 s80, 0x100                                      // 000000005B58: B7500100
	s_cmp_lt_i32 s80, s81                                      // 000000005B5C: BF045150
	s_cbranch_scc0 label_0B5A                                  // 000000005B60: BF840001
	s_branch label_0991                                        // 000000005B64: BF82FE37

0000000000005b68 <label_0B5A>:
	s_mov_b32 s36, -1                                          // 000000005B68: BEA400C1
	s_mov_b32 s37, -1                                          // 000000005B6C: BEA500C1
	s_mov_b64 s[60:61], 0                                      // 000000005B70: BEBC0180
	s_cmp_lt_u32 s82, s66                                      // 000000005B74: BF0A4252
	s_cselect_b64 s[20:21], s[36:37], s[60:61]                 // 000000005B78: 85943C24
	s_cmp_lt_u32 s83, s66                                      // 000000005B7C: BF0A4253
	s_cselect_b64 s[22:23], s[36:37], s[60:61]                 // 000000005B80: 85963C24
	s_cmp_lt_u32 s84, s66                                      // 000000005B84: BF0A4254
	s_cselect_b64 s[24:25], s[36:37], s[60:61]                 // 000000005B88: 85983C24
	s_cmp_lt_u32 s85, s66                                      // 000000005B8C: BF0A4255
	s_cselect_b64 s[26:27], s[36:37], s[60:61]                 // 000000005B90: 859A3C24
	s_cmp_lt_u32 s86, s66                                      // 000000005B94: BF0A4256
	s_cselect_b64 s[28:29], s[36:37], s[60:61]                 // 000000005B98: 859C3C24
	s_cmp_lt_u32 s87, s66                                      // 000000005B9C: BF0A4257
	s_cselect_b64 s[30:31], s[36:37], s[60:61]                 // 000000005BA0: 859E3C24
	s_cmp_lt_u32 s88, s66                                      // 000000005BA4: BF0A4258
	s_cselect_b64 s[32:33], s[36:37], s[60:61]                 // 000000005BA8: 85A03C24
	s_cmp_lt_u32 s89, s66                                      // 000000005BAC: BF0A4259
	s_cselect_b64 s[34:35], s[36:37], s[60:61]                 // 000000005BB0: 85A23C24
	v_mul_f32_e32 v128, v13, v128                              // 000000005BB4: 0B01010D
	v_mul_f32_e32 v129, v13, v129                              // 000000005BB8: 0B03030D
	v_mul_f32_e32 v130, v13, v130                              // 000000005BBC: 0B05050D
	v_mul_f32_e32 v131, v13, v131                              // 000000005BC0: 0B07070D
	v_mul_f32_dpp v128, v15, v128 row_newbcast:0 row_mask:0xf bank_mask:0xf// 000000005BC4: 0B0100FA FF01500F
	v_mul_f32_dpp v129, v15, v129 row_newbcast:1 row_mask:0xf bank_mask:0xf// 000000005BCC: 0B0302FA FF01510F
	v_mul_f32_dpp v130, v15, v130 row_newbcast:2 row_mask:0xf bank_mask:0xf// 000000005BD4: 0B0504FA FF01520F
	v_mul_f32_dpp v131, v15, v131 row_newbcast:3 row_mask:0xf bank_mask:0xf// 000000005BDC: 0B0706FA FF01530F
	v_mul_f32_e32 v132, v14, v132                              // 000000005BE4: 0B09090E
	v_mul_f32_e32 v133, v14, v133                              // 000000005BE8: 0B0B0B0E
	v_mul_f32_e32 v134, v14, v134                              // 000000005BEC: 0B0D0D0E
	v_mul_f32_e32 v135, v14, v135                              // 000000005BF0: 0B0F0F0E
	v_mul_f32_dpp v132, v15, v132 row_newbcast:0 row_mask:0xf bank_mask:0xf// 000000005BF4: 0B0908FA FF01500F
	v_mul_f32_dpp v133, v15, v133 row_newbcast:1 row_mask:0xf bank_mask:0xf// 000000005BFC: 0B0B0AFA FF01510F
	v_mul_f32_dpp v134, v15, v134 row_newbcast:2 row_mask:0xf bank_mask:0xf// 000000005C04: 0B0D0CFA FF01520F
	v_mul_f32_dpp v135, v15, v135 row_newbcast:3 row_mask:0xf bank_mask:0xf// 000000005C0C: 0B0F0EFA FF01530F
	v_mul_f32_e32 v136, v13, v136                              // 000000005C14: 0B11110D
	v_mul_f32_e32 v137, v13, v137                              // 000000005C18: 0B13130D
	v_mul_f32_e32 v138, v13, v138                              // 000000005C1C: 0B15150D
	v_mul_f32_e32 v139, v13, v139                              // 000000005C20: 0B17170D
	v_mul_f32_dpp v136, v15, v136 row_newbcast:4 row_mask:0xf bank_mask:0xf// 000000005C24: 0B1110FA FF01540F
	v_mul_f32_dpp v137, v15, v137 row_newbcast:5 row_mask:0xf bank_mask:0xf// 000000005C2C: 0B1312FA FF01550F
	v_mul_f32_dpp v138, v15, v138 row_newbcast:6 row_mask:0xf bank_mask:0xf// 000000005C34: 0B1514FA FF01560F
	v_mul_f32_dpp v139, v15, v139 row_newbcast:7 row_mask:0xf bank_mask:0xf// 000000005C3C: 0B1716FA FF01570F
	v_mul_f32_e32 v140, v14, v140                              // 000000005C44: 0B19190E
	v_mul_f32_e32 v141, v14, v141                              // 000000005C48: 0B1B1B0E
	v_mul_f32_e32 v142, v14, v142                              // 000000005C4C: 0B1D1D0E
	v_mul_f32_e32 v143, v14, v143                              // 000000005C50: 0B1F1F0E
	v_mul_f32_dpp v140, v15, v140 row_newbcast:4 row_mask:0xf bank_mask:0xf// 000000005C54: 0B1918FA FF01540F
	v_mul_f32_dpp v141, v15, v141 row_newbcast:5 row_mask:0xf bank_mask:0xf// 000000005C5C: 0B1B1AFA FF01550F
	v_mul_f32_dpp v142, v15, v142 row_newbcast:6 row_mask:0xf bank_mask:0xf// 000000005C64: 0B1D1CFA FF01560F
	v_mul_f32_dpp v143, v15, v143 row_newbcast:7 row_mask:0xf bank_mask:0xf// 000000005C6C: 0B1F1EFA FF01570F
	v_mul_f32_e32 v64, v13, v64                                // 000000005C74: 0A80810D
	v_mul_f32_e32 v65, v13, v65                                // 000000005C78: 0A82830D
	v_mul_f32_e32 v66, v13, v66                                // 000000005C7C: 0A84850D
	v_mul_f32_e32 v67, v13, v67                                // 000000005C80: 0A86870D
	v_mul_f32_dpp v64, v42, v64 row_newbcast:0 row_mask:0xf bank_mask:0xf// 000000005C84: 0A8080FA FF01502A
	v_mul_f32_dpp v65, v42, v65 row_newbcast:1 row_mask:0xf bank_mask:0xf// 000000005C8C: 0A8282FA FF01512A
	v_mul_f32_dpp v66, v42, v66 row_newbcast:2 row_mask:0xf bank_mask:0xf// 000000005C94: 0A8484FA FF01522A
	v_mul_f32_dpp v67, v42, v67 row_newbcast:3 row_mask:0xf bank_mask:0xf// 000000005C9C: 0A8686FA FF01532A
	v_mul_f32_e32 v68, v14, v68                                // 000000005CA4: 0A88890E
	v_mul_f32_e32 v69, v14, v69                                // 000000005CA8: 0A8A8B0E
	v_mul_f32_e32 v70, v14, v70                                // 000000005CAC: 0A8C8D0E
	v_mul_f32_e32 v71, v14, v71                                // 000000005CB0: 0A8E8F0E
	v_mul_f32_dpp v68, v42, v68 row_newbcast:0 row_mask:0xf bank_mask:0xf// 000000005CB4: 0A8888FA FF01502A
	v_mul_f32_dpp v69, v42, v69 row_newbcast:1 row_mask:0xf bank_mask:0xf// 000000005CBC: 0A8A8AFA FF01512A
	v_mul_f32_dpp v70, v42, v70 row_newbcast:2 row_mask:0xf bank_mask:0xf// 000000005CC4: 0A8C8CFA FF01522A
	v_mul_f32_dpp v71, v42, v71 row_newbcast:3 row_mask:0xf bank_mask:0xf// 000000005CCC: 0A8E8EFA FF01532A
	v_mul_f32_e32 v72, v13, v72                                // 000000005CD4: 0A90910D
	v_mul_f32_e32 v73, v13, v73                                // 000000005CD8: 0A92930D
	v_mul_f32_e32 v74, v13, v74                                // 000000005CDC: 0A94950D
	v_mul_f32_e32 v75, v13, v75                                // 000000005CE0: 0A96970D
	v_mul_f32_dpp v72, v42, v72 row_newbcast:4 row_mask:0xf bank_mask:0xf// 000000005CE4: 0A9090FA FF01542A
	v_mul_f32_dpp v73, v42, v73 row_newbcast:5 row_mask:0xf bank_mask:0xf// 000000005CEC: 0A9292FA FF01552A
	v_mul_f32_dpp v74, v42, v74 row_newbcast:6 row_mask:0xf bank_mask:0xf// 000000005CF4: 0A9494FA FF01562A
	v_mul_f32_dpp v75, v42, v75 row_newbcast:7 row_mask:0xf bank_mask:0xf// 000000005CFC: 0A9696FA FF01572A
	v_mul_f32_e32 v76, v14, v76                                // 000000005D04: 0A98990E
	v_mul_f32_e32 v77, v14, v77                                // 000000005D08: 0A9A9B0E
	v_mul_f32_e32 v78, v14, v78                                // 000000005D0C: 0A9C9D0E
	v_mul_f32_e32 v79, v14, v79                                // 000000005D10: 0A9E9F0E
	v_mul_f32_dpp v76, v42, v76 row_newbcast:4 row_mask:0xf bank_mask:0xf// 000000005D14: 0A9898FA FF01542A
	v_mul_f32_dpp v77, v42, v77 row_newbcast:5 row_mask:0xf bank_mask:0xf// 000000005D1C: 0A9A9AFA FF01552A
	v_mul_f32_dpp v78, v42, v78 row_newbcast:6 row_mask:0xf bank_mask:0xf// 000000005D24: 0A9C9CFA FF01562A
	v_mul_f32_dpp v79, v42, v79 row_newbcast:7 row_mask:0xf bank_mask:0xf// 000000005D2C: 0A9E9EFA FF01572A
	s_waitcnt vmcnt(4)                                         // 000000005D34: BF8C0F74
	buffer_load_dwordx4 a[0:3], v34, s[12:15], 0 offen         // 000000005D38: E05C1000 80830022
	v_mul_f32_e32 v44, v128, v128                              // 000000005D40: 0A590180
	v_mul_f32_e32 v45, v129, v129                              // 000000005D44: 0A5B0381
	v_mul_f32_e32 v46, v130, v130                              // 000000005D48: 0A5D0582
	v_mul_f32_e32 v47, v131, v131                              // 000000005D4C: 0A5F0783
	v_fma_f32 v44, v44, s77, v1                                // 000000005D50: D1CB002C 04049B2C
	v_fma_f32 v45, v45, s77, v1                                // 000000005D58: D1CB002D 04049B2D
	v_fma_f32 v46, v46, s77, v1                                // 000000005D60: D1CB002E 04049B2E
	v_fma_f32 v47, v47, s77, v1                                // 000000005D68: D1CB002F 04049B2F
	v_mul_f32_e32 v44, v44, v128                               // 000000005D70: 0A59012C
	v_mul_f32_e32 v45, v45, v129                               // 000000005D74: 0A5B032D
	v_mul_f32_e32 v46, v46, v130                               // 000000005D78: 0A5D052E
	v_mul_f32_e32 v47, v47, v131                               // 000000005D7C: 0A5F072F
	v_mul_f32_e64 v44, v44, s6                                 // 000000005D80: D105002C 00000D2C
	v_mul_f32_e64 v45, v45, s6                                 // 000000005D88: D105002D 00000D2D
	v_mul_f32_e64 v46, v46, s6                                 // 000000005D90: D105002E 00000D2E
	v_mul_f32_e64 v47, v47, s6                                 // 000000005D98: D105002F 00000D2F
	v_exp_f32_e32 v44, v44                                     // 000000005DA0: 7E58412C
	v_exp_f32_e32 v45, v45                                     // 000000005DA4: 7E5A412D
	v_exp_f32_e32 v46, v46                                     // 000000005DA8: 7E5C412E
	v_exp_f32_e32 v47, v47                                     // 000000005DAC: 7E5E412F
	buffer_load_dwordx4 a[4:7], v35, s[12:15], 0 offen         // 000000005DB0: E05C1000 80830423
	v_add_f32_e64 v44, v44, 1.0                                // 000000005DB8: D101002C 0001E52C
	v_add_f32_e64 v45, v45, 1.0                                // 000000005DC0: D101002D 0001E52D
	v_add_f32_e64 v46, v46, 1.0                                // 000000005DC8: D101002E 0001E52E
	v_add_f32_e64 v47, v47, 1.0                                // 000000005DD0: D101002F 0001E52F
	v_rcp_f32_e32 v44, v44                                     // 000000005DD8: 7E58452C
	v_rcp_f32_e32 v45, v45                                     // 000000005DDC: 7E5A452D
	v_rcp_f32_e32 v46, v46                                     // 000000005DE0: 7E5C452E
	v_rcp_f32_e32 v47, v47                                     // 000000005DE4: 7E5E452F
	v_mul_f32_e32 v128, v128, v44                              // 000000005DE8: 0B005980
	v_mul_f32_e32 v129, v129, v45                              // 000000005DEC: 0B025B81
	v_mul_f32_e32 v130, v130, v46                              // 000000005DF0: 0B045D82
	v_mul_f32_e32 v131, v131, v47                              // 000000005DF4: 0B065F83
	v_mul_f32_e32 v128, v128, v64                              // 000000005DF8: 0B008180
	v_mul_f32_e32 v129, v129, v65                              // 000000005DFC: 0B028381
	v_mul_f32_e32 v130, v130, v66                              // 000000005E00: 0B048582
	v_mul_f32_e32 v131, v131, v67                              // 000000005E04: 0B068783
	buffer_load_dwordx4 a[8:11], v36, s[12:15], 0 offen        // 000000005E08: E05C1000 80830824
	v_mul_f32_e32 v44, v132, v132                              // 000000005E10: 0A590984
	v_mul_f32_e32 v45, v133, v133                              // 000000005E14: 0A5B0B85
	v_mul_f32_e32 v46, v134, v134                              // 000000005E18: 0A5D0D86
	v_mul_f32_e32 v47, v135, v135                              // 000000005E1C: 0A5F0F87
	v_fma_f32 v44, v44, s77, v1                                // 000000005E20: D1CB002C 04049B2C
	v_fma_f32 v45, v45, s77, v1                                // 000000005E28: D1CB002D 04049B2D
	v_fma_f32 v46, v46, s77, v1                                // 000000005E30: D1CB002E 04049B2E
	v_fma_f32 v47, v47, s77, v1                                // 000000005E38: D1CB002F 04049B2F
	v_mul_f32_e32 v44, v44, v132                               // 000000005E40: 0A59092C
	v_mul_f32_e32 v45, v45, v133                               // 000000005E44: 0A5B0B2D
	v_mul_f32_e32 v46, v46, v134                               // 000000005E48: 0A5D0D2E
	v_mul_f32_e32 v47, v47, v135                               // 000000005E4C: 0A5F0F2F
	v_mul_f32_e64 v44, v44, s6                                 // 000000005E50: D105002C 00000D2C
	v_mul_f32_e64 v45, v45, s6                                 // 000000005E58: D105002D 00000D2D
	v_mul_f32_e64 v46, v46, s6                                 // 000000005E60: D105002E 00000D2E
	v_mul_f32_e64 v47, v47, s6                                 // 000000005E68: D105002F 00000D2F
	v_exp_f32_e32 v44, v44                                     // 000000005E70: 7E58412C
	v_exp_f32_e32 v45, v45                                     // 000000005E74: 7E5A412D
	v_exp_f32_e32 v46, v46                                     // 000000005E78: 7E5C412E
	v_exp_f32_e32 v47, v47                                     // 000000005E7C: 7E5E412F
	buffer_load_dwordx4 a[12:15], v37, s[12:15], 0 offen       // 000000005E80: E05C1000 80830C25
	s_add_u32 s12, s78, s12                                    // 000000005E88: 800C0C4E
	s_addc_u32 s13, 0, s13                                     // 000000005E8C: 820D0D80
	v_add_f32_e64 v44, v44, 1.0                                // 000000005E90: D101002C 0001E52C
	v_add_f32_e64 v45, v45, 1.0                                // 000000005E98: D101002D 0001E52D
	v_add_f32_e64 v46, v46, 1.0                                // 000000005EA0: D101002E 0001E52E
	v_add_f32_e64 v47, v47, 1.0                                // 000000005EA8: D101002F 0001E52F
	v_rcp_f32_e32 v44, v44                                     // 000000005EB0: 7E58452C
	v_rcp_f32_e32 v45, v45                                     // 000000005EB4: 7E5A452D
	v_rcp_f32_e32 v46, v46                                     // 000000005EB8: 7E5C452E
	v_rcp_f32_e32 v47, v47                                     // 000000005EBC: 7E5E452F
	v_mul_f32_e32 v132, v132, v44                              // 000000005EC0: 0B085984
	v_mul_f32_e32 v133, v133, v45                              // 000000005EC4: 0B0A5B85
	v_mul_f32_e32 v134, v134, v46                              // 000000005EC8: 0B0C5D86
	v_mul_f32_e32 v135, v135, v47                              // 000000005ECC: 0B0E5F87
	v_mul_f32_e32 v132, v132, v68                              // 000000005ED0: 0B088984
	v_mul_f32_e32 v133, v133, v69                              // 000000005ED4: 0B0A8B85
	v_mul_f32_e32 v134, v134, v70                              // 000000005ED8: 0B0C8D86
	v_mul_f32_e32 v135, v135, v71                              // 000000005EDC: 0B0E8F87
	s_waitcnt vmcnt(4)                                         // 000000005EE0: BF8C0F74
	buffer_load_dwordx4 a[16:19], v34, s[12:15], 0 offen       // 000000005EE4: E05C1000 80831022
	v_mul_f32_e32 v44, v136, v136                              // 000000005EEC: 0A591188
	v_mul_f32_e32 v45, v137, v137                              // 000000005EF0: 0A5B1389
	v_mul_f32_e32 v46, v138, v138                              // 000000005EF4: 0A5D158A
	v_mul_f32_e32 v47, v139, v139                              // 000000005EF8: 0A5F178B
	v_fma_f32 v44, v44, s77, v1                                // 000000005EFC: D1CB002C 04049B2C
	v_fma_f32 v45, v45, s77, v1                                // 000000005F04: D1CB002D 04049B2D
	v_fma_f32 v46, v46, s77, v1                                // 000000005F0C: D1CB002E 04049B2E
	v_fma_f32 v47, v47, s77, v1                                // 000000005F14: D1CB002F 04049B2F
	v_mul_f32_e32 v44, v44, v136                               // 000000005F1C: 0A59112C
	v_mul_f32_e32 v45, v45, v137                               // 000000005F20: 0A5B132D
	v_mul_f32_e32 v46, v46, v138                               // 000000005F24: 0A5D152E
	v_mul_f32_e32 v47, v47, v139                               // 000000005F28: 0A5F172F
	v_mul_f32_e64 v44, v44, s6                                 // 000000005F2C: D105002C 00000D2C
	v_mul_f32_e64 v45, v45, s6                                 // 000000005F34: D105002D 00000D2D
	v_mul_f32_e64 v46, v46, s6                                 // 000000005F3C: D105002E 00000D2E
	v_mul_f32_e64 v47, v47, s6                                 // 000000005F44: D105002F 00000D2F
	v_exp_f32_e32 v44, v44                                     // 000000005F4C: 7E58412C
	v_exp_f32_e32 v45, v45                                     // 000000005F50: 7E5A412D
	v_exp_f32_e32 v46, v46                                     // 000000005F54: 7E5C412E
	v_exp_f32_e32 v47, v47                                     // 000000005F58: 7E5E412F
	buffer_load_dwordx4 a[20:23], v35, s[12:15], 0 offen       // 000000005F5C: E05C1000 80831423
	v_add_f32_e64 v44, v44, 1.0                                // 000000005F64: D101002C 0001E52C
	v_add_f32_e64 v45, v45, 1.0                                // 000000005F6C: D101002D 0001E52D
	v_add_f32_e64 v46, v46, 1.0                                // 000000005F74: D101002E 0001E52E
	v_add_f32_e64 v47, v47, 1.0                                // 000000005F7C: D101002F 0001E52F
	v_rcp_f32_e32 v44, v44                                     // 000000005F84: 7E58452C
	v_rcp_f32_e32 v45, v45                                     // 000000005F88: 7E5A452D
	v_rcp_f32_e32 v46, v46                                     // 000000005F8C: 7E5C452E
	v_rcp_f32_e32 v47, v47                                     // 000000005F90: 7E5E452F
	v_mul_f32_e32 v136, v136, v44                              // 000000005F94: 0B105988
	v_mul_f32_e32 v137, v137, v45                              // 000000005F98: 0B125B89
	v_mul_f32_e32 v138, v138, v46                              // 000000005F9C: 0B145D8A
	v_mul_f32_e32 v139, v139, v47                              // 000000005FA0: 0B165F8B
	v_mul_f32_e32 v136, v136, v72                              // 000000005FA4: 0B109188
	v_mul_f32_e32 v137, v137, v73                              // 000000005FA8: 0B129389
	v_mul_f32_e32 v138, v138, v74                              // 000000005FAC: 0B14958A
	v_mul_f32_e32 v139, v139, v75                              // 000000005FB0: 0B16978B
	buffer_load_dwordx4 a[24:27], v36, s[12:15], 0 offen       // 000000005FB4: E05C1000 80831824
	v_mul_f32_e32 v44, v140, v140                              // 000000005FBC: 0A59198C
	v_mul_f32_e32 v45, v141, v141                              // 000000005FC0: 0A5B1B8D
	v_mul_f32_e32 v46, v142, v142                              // 000000005FC4: 0A5D1D8E
	v_mul_f32_e32 v47, v143, v143                              // 000000005FC8: 0A5F1F8F
	v_fma_f32 v44, v44, s77, v1                                // 000000005FCC: D1CB002C 04049B2C
	v_fma_f32 v45, v45, s77, v1                                // 000000005FD4: D1CB002D 04049B2D
	v_fma_f32 v46, v46, s77, v1                                // 000000005FDC: D1CB002E 04049B2E
	v_fma_f32 v47, v47, s77, v1                                // 000000005FE4: D1CB002F 04049B2F
	v_mul_f32_e32 v44, v44, v140                               // 000000005FEC: 0A59192C
	v_mul_f32_e32 v45, v45, v141                               // 000000005FF0: 0A5B1B2D
	v_mul_f32_e32 v46, v46, v142                               // 000000005FF4: 0A5D1D2E
	v_mul_f32_e32 v47, v47, v143                               // 000000005FF8: 0A5F1F2F
	v_mul_f32_e64 v44, v44, s6                                 // 000000005FFC: D105002C 00000D2C
	v_mul_f32_e64 v45, v45, s6                                 // 000000006004: D105002D 00000D2D
	v_mul_f32_e64 v46, v46, s6                                 // 00000000600C: D105002E 00000D2E
	v_mul_f32_e64 v47, v47, s6                                 // 000000006014: D105002F 00000D2F
	v_exp_f32_e32 v44, v44                                     // 00000000601C: 7E58412C
	v_exp_f32_e32 v45, v45                                     // 000000006020: 7E5A412D
	v_exp_f32_e32 v46, v46                                     // 000000006024: 7E5C412E
	v_exp_f32_e32 v47, v47                                     // 000000006028: 7E5E412F
	buffer_load_dwordx4 a[28:31], v37, s[12:15], 0 offen       // 00000000602C: E05C1000 80831C25
	v_add_f32_e64 v44, v44, 1.0                                // 000000006034: D101002C 0001E52C
	v_add_f32_e64 v45, v45, 1.0                                // 00000000603C: D101002D 0001E52D
	v_add_f32_e64 v46, v46, 1.0                                // 000000006044: D101002E 0001E52E
	v_add_f32_e64 v47, v47, 1.0                                // 00000000604C: D101002F 0001E52F
	v_rcp_f32_e32 v44, v44                                     // 000000006054: 7E58452C
	v_rcp_f32_e32 v45, v45                                     // 000000006058: 7E5A452D
	v_rcp_f32_e32 v46, v46                                     // 00000000605C: 7E5C452E
	v_rcp_f32_e32 v47, v47                                     // 000000006060: 7E5E452F
	v_mul_f32_e32 v140, v140, v44                              // 000000006064: 0B18598C
	v_mul_f32_e32 v141, v141, v45                              // 000000006068: 0B1A5B8D
	v_mul_f32_e32 v142, v142, v46                              // 00000000606C: 0B1C5D8E
	v_mul_f32_e32 v143, v143, v47                              // 000000006070: 0B1E5F8F
	v_mul_f32_e32 v140, v140, v76                              // 000000006074: 0B18998C
	v_mul_f32_e32 v141, v141, v77                              // 000000006078: 0B1A9B8D
	v_mul_f32_e32 v142, v142, v78                              // 00000000607C: 0B1C9D8E
	v_mul_f32_e32 v143, v143, v79                              // 000000006080: 0B1E9F8F
	v_mul_f32_dpp v128, v16, v128 row_newbcast:0 row_mask:0xf bank_mask:0xf// 000000006084: 0B0100FA FF015010
	v_mul_f32_dpp v129, v16, v129 row_newbcast:1 row_mask:0xf bank_mask:0xf// 00000000608C: 0B0302FA FF015110
	v_mul_f32_dpp v130, v16, v130 row_newbcast:2 row_mask:0xf bank_mask:0xf// 000000006094: 0B0504FA FF015210
	v_mul_f32_dpp v131, v16, v131 row_newbcast:3 row_mask:0xf bank_mask:0xf// 00000000609C: 0B0706FA FF015310
	v_mul_f32_dpp v132, v16, v132 row_newbcast:0 row_mask:0xf bank_mask:0xf// 0000000060A4: 0B0908FA FF015010
	v_mul_f32_dpp v133, v16, v133 row_newbcast:1 row_mask:0xf bank_mask:0xf// 0000000060AC: 0B0B0AFA FF015110
	v_mul_f32_dpp v134, v16, v134 row_newbcast:2 row_mask:0xf bank_mask:0xf// 0000000060B4: 0B0D0CFA FF015210
	v_mul_f32_dpp v135, v16, v135 row_newbcast:3 row_mask:0xf bank_mask:0xf// 0000000060BC: 0B0F0EFA FF015310
	v_mul_f32_dpp v136, v16, v136 row_newbcast:4 row_mask:0xf bank_mask:0xf// 0000000060C4: 0B1110FA FF015410
	v_mul_f32_dpp v137, v16, v137 row_newbcast:5 row_mask:0xf bank_mask:0xf// 0000000060CC: 0B1312FA FF015510
	v_mul_f32_dpp v138, v16, v138 row_newbcast:6 row_mask:0xf bank_mask:0xf// 0000000060D4: 0B1514FA FF015610
	v_mul_f32_dpp v139, v16, v139 row_newbcast:7 row_mask:0xf bank_mask:0xf// 0000000060DC: 0B1716FA FF015710
	v_mul_f32_dpp v140, v16, v140 row_newbcast:4 row_mask:0xf bank_mask:0xf// 0000000060E4: 0B1918FA FF015410
	v_mul_f32_dpp v141, v16, v141 row_newbcast:5 row_mask:0xf bank_mask:0xf// 0000000060EC: 0B1B1AFA FF015510
	v_mul_f32_dpp v142, v16, v142 row_newbcast:6 row_mask:0xf bank_mask:0xf// 0000000060F4: 0B1D1CFA FF015610
	v_mul_f32_dpp v143, v16, v143 row_newbcast:7 row_mask:0xf bank_mask:0xf// 0000000060FC: 0B1F1EFA FF015710
	v_lshlrev_b32_e32 v44, 2, v0                               // 000000006104: 24580082
	s_mul_i32 s60, s82, s71                                    // 000000006108: 923C4752
	v_add_u32_e64 v80, v44, s60                                // 00000000610C: D1340050 0000792C
	v_mov_b32_e32 v81, 0                                       // 000000006114: 7EA20280
	s_mul_i32 s60, s83, s71                                    // 000000006118: 923C4753
	v_add_u32_e64 v82, v44, s60                                // 00000000611C: D1340052 0000792C
	v_mov_b32_e32 v83, 0                                       // 000000006124: 7EA60280
	s_mul_i32 s60, s84, s71                                    // 000000006128: 923C4754
	v_add_u32_e64 v84, v44, s60                                // 00000000612C: D1340054 0000792C
	v_mov_b32_e32 v85, 0                                       // 000000006134: 7EAA0280
	s_mul_i32 s60, s85, s71                                    // 000000006138: 923C4755
	v_add_u32_e64 v86, v44, s60                                // 00000000613C: D1340056 0000792C
	v_mov_b32_e32 v87, 0                                       // 000000006144: 7EAE0280
	s_mul_i32 s60, s86, s71                                    // 000000006148: 923C4756
	v_add_u32_e64 v88, v44, s60                                // 00000000614C: D1340058 0000792C
	v_mov_b32_e32 v89, 0                                       // 000000006154: 7EB20280
	s_mul_i32 s60, s87, s71                                    // 000000006158: 923C4757
	v_add_u32_e64 v90, v44, s60                                // 00000000615C: D134005A 0000792C
	v_mov_b32_e32 v91, 0                                       // 000000006164: 7EB60280
	s_mul_i32 s60, s88, s71                                    // 000000006168: 923C4758
	v_add_u32_e64 v92, v44, s60                                // 00000000616C: D134005C 0000792C
	v_mov_b32_e32 v93, 0                                       // 000000006174: 7EBA0280
	s_mul_i32 s60, s89, s71                                    // 000000006178: 923C4759
	v_add_u32_e64 v94, v44, s60                                // 00000000617C: D134005E 0000792C
	v_mov_b32_e32 v95, 0                                       // 000000006184: 7EBE0280
	buffer_load_dword v11, v5, s[16:19], 0 offen               // 000000006188: E0501000 80040B05
	v_mov_b32_e32 v20, 0x358637bd                              // 000000006190: 7E2802FF 358637BD
	v_mov_b32_e32 v21, 0x358637bd                              // 000000006198: 7E2A02FF 358637BD
	v_max3_f32 v20, |v128|, |v129|, v20                        // 0000000061A0: D1D30314 04530380
	v_max3_f32 v20, |v130|, |v131|, v20                        // 0000000061A8: D1D30314 04530782
	v_max3_f32 v21, |v132|, |v133|, v21                        // 0000000061B0: D1D30315 04570B84
	v_max3_f32 v21, |v134|, |v135|, v21                        // 0000000061B8: D1D30315 04570F86
	v_max3_f32 v20, |v136|, |v137|, v20                        // 0000000061C0: D1D30314 04531388
	v_max3_f32 v20, |v138|, |v139|, v20                        // 0000000061C8: D1D30314 0453178A
	v_max3_f32 v21, |v140|, |v141|, v21                        // 0000000061D0: D1D30315 04571B8C
	v_max3_f32 v21, |v142|, |v143|, v21                        // 0000000061D8: D1D30315 04571F8E
	v_lshlrev_b32_e32 v44, 3, v0                               // 0000000061E0: 24580083
	s_mul_i32 s60, 0x200, s7                                   // 0000000061E4: 923C07FF 00000200
	v_add_u32_e32 v44, s60, v44                                // 0000000061EC: 6858583C
	ds_write_b64 v44, v[20:21] offset:16640                    // 0000000061F0: D89A4100 0000142C
	s_waitcnt lgkmcnt(0)                                       // 0000000061F8: BF8CC07F
	s_barrier                                                  // 0000000061FC: BF8A0000
	v_and_b32_e32 v44, 15, v0                                  // 000000006200: 2658008F
	v_lshlrev_b32_e32 v44, 3, v44                              // 000000006204: 24585883
	ds_read_b64 v[96:97], v44 offset:16640                     // 000000006208: D8EC4100 6000002C
	ds_read_b64 v[98:99], v44 offset:16768                     // 000000006210: D8EC4180 6200002C
	ds_read_b64 v[100:101], v44 offset:16896                   // 000000006218: D8EC4200 6400002C
	ds_read_b64 v[102:103], v44 offset:17024                   // 000000006220: D8EC4280 6600002C
	ds_read_b64 v[104:105], v44 offset:17152                   // 000000006228: D8EC4300 6800002C
	ds_read_b64 v[106:107], v44 offset:17280                   // 000000006230: D8EC4380 6A00002C
	ds_read_b64 v[108:109], v44 offset:17408                   // 000000006238: D8EC4400 6C00002C
	ds_read_b64 v[110:111], v44 offset:17536                   // 000000006240: D8EC4480 6E00002C
	ds_read_b64 v[112:113], v44 offset:17664                   // 000000006248: D8EC4500 7000002C
	ds_read_b64 v[114:115], v44 offset:17792                   // 000000006250: D8EC4580 7200002C
	ds_read_b64 v[116:117], v44 offset:17920                   // 000000006258: D8EC4600 7400002C
	ds_read_b64 v[118:119], v44 offset:18048                   // 000000006260: D8EC4680 7600002C
	ds_read_b64 v[120:121], v44 offset:18176                   // 000000006268: D8EC4700 7800002C
	ds_read_b64 v[122:123], v44 offset:18304                   // 000000006270: D8EC4780 7A00002C
	ds_read_b64 v[124:125], v44 offset:18432                   // 000000006278: D8EC4800 7C00002C
	ds_read_b64 v[126:127], v44 offset:18560                   // 000000006280: D8EC4880 7E00002C
	s_waitcnt lgkmcnt(0)                                       // 000000006288: BF8CC07F
	v_max3_f32 v20, |v96|, |v98|, v20                          // 00000000628C: D1D30314 0452C560
	v_max3_f32 v21, |v97|, |v99|, v21                          // 000000006294: D1D30315 0456C761
	v_max3_f32 v20, |v100|, |v102|, v20                        // 00000000629C: D1D30314 0452CD64
	v_max3_f32 v21, |v101|, |v103|, v21                        // 0000000062A4: D1D30315 0456CF65
	v_max3_f32 v20, |v104|, |v106|, v20                        // 0000000062AC: D1D30314 0452D568
	v_max3_f32 v21, |v105|, |v107|, v21                        // 0000000062B4: D1D30315 0456D769
	v_max3_f32 v20, |v108|, |v110|, v20                        // 0000000062BC: D1D30314 0452DD6C
	v_max3_f32 v21, |v109|, |v111|, v21                        // 0000000062C4: D1D30315 0456DF6D
	v_max3_f32 v20, |v112|, |v114|, v20                        // 0000000062CC: D1D30314 0452E570
	v_max3_f32 v21, |v113|, |v115|, v21                        // 0000000062D4: D1D30315 0456E771
	v_max3_f32 v20, |v116|, |v118|, v20                        // 0000000062DC: D1D30314 0452ED74
	v_max3_f32 v21, |v117|, |v119|, v21                        // 0000000062E4: D1D30315 0456EF75
	v_max3_f32 v20, |v120|, |v122|, v20                        // 0000000062EC: D1D30314 0452F578
	v_max3_f32 v21, |v121|, |v123|, v21                        // 0000000062F4: D1D30315 0456F779
	v_max3_f32 v20, |v124|, |v126|, v20                        // 0000000062FC: D1D30314 0452FD7C
	v_max3_f32 v21, |v125|, |v127|, v21                        // 000000006304: D1D30315 0456FF7D
	v_rcp_f32_e32 v20, v20                                     // 00000000630C: 7E284514
	v_rcp_f32_e32 v21, v21                                     // 000000006310: 7E2A4515
	v_mov_b32_e32 v44, 0x43e00000                              // 000000006314: 7E5802FF 43E00000
	v_mul_f32_e32 v20, v44, v20                                // 00000000631C: 0A28292C
	v_mul_f32_e32 v21, v44, v21                                // 000000006320: 0A2A2B2C
	v_mul_f32_e32 v128, v20, v128                              // 000000006324: 0B010114
	v_mul_f32_e32 v129, v20, v129                              // 000000006328: 0B030314
	v_mul_f32_e32 v130, v20, v130                              // 00000000632C: 0B050514
	v_mul_f32_e32 v131, v20, v131                              // 000000006330: 0B070714
	v_cvt_pk_fp8_f32 v128, v128, v129                          // 000000006334: D2A20080 00030380
	v_cvt_pk_fp8_f32 v128, v130, v131 op_sel:[0,0,1]           // 00000000633C: D2A24080 00030782
	v_mul_f32_e32 v132, v21, v132                              // 000000006344: 0B090915
	v_mul_f32_e32 v133, v21, v133                              // 000000006348: 0B0B0B15
	v_mul_f32_e32 v134, v21, v134                              // 00000000634C: 0B0D0D15
	v_mul_f32_e32 v135, v21, v135                              // 000000006350: 0B0F0F15
	v_cvt_pk_fp8_f32 v129, v132, v133                          // 000000006354: D2A20081 00030B84
	v_cvt_pk_fp8_f32 v129, v134, v135 op_sel:[0,0,1]           // 00000000635C: D2A24081 00030F86
	v_mul_f32_e32 v136, v20, v136                              // 000000006364: 0B111114
	v_mul_f32_e32 v137, v20, v137                              // 000000006368: 0B131314
	v_mul_f32_e32 v138, v20, v138                              // 00000000636C: 0B151514
	v_mul_f32_e32 v139, v20, v139                              // 000000006370: 0B171714
	v_cvt_pk_fp8_f32 v130, v136, v137                          // 000000006374: D2A20082 00031388
	v_cvt_pk_fp8_f32 v130, v138, v139 op_sel:[0,0,1]           // 00000000637C: D2A24082 0003178A
	v_mul_f32_e32 v140, v21, v140                              // 000000006384: 0B191915
	v_mul_f32_e32 v141, v21, v141                              // 000000006388: 0B1B1B15
	v_mul_f32_e32 v142, v21, v142                              // 00000000638C: 0B1D1D15
	v_mul_f32_e32 v143, v21, v143                              // 000000006390: 0B1F1F15
	v_cvt_pk_fp8_f32 v131, v140, v141                          // 000000006394: D2A20083 00031B8C
	v_cvt_pk_fp8_f32 v131, v142, v143 op_sel:[0,0,1]           // 00000000639C: D2A24083 00031F8E
	v_rcp_f32_e32 v22, v20                                     // 0000000063A4: 7E2C4514
	v_rcp_f32_e32 v23, v21                                     // 0000000063A8: 7E2E4515
	v_lshrrev_b32_e32 v44, 5, v0                               // 0000000063AC: 20580085
	v_lshlrev_b32_e32 v45, 5, v44                              // 0000000063B0: 245A5885
	v_and_b32_e32 v44, 31, v0                                  // 0000000063B4: 2658009F
	v_lshrrev_b32_e32 v46, 4, v44                              // 0000000063B8: 205C5884
	v_add_u32_e32 v45, v46, v45                                // 0000000063BC: 685A5B2E
	v_and_b32_e32 v44, 15, v0                                  // 0000000063C0: 2658008F
	v_lshlrev_b32_e32 v44, 1, v44                              // 0000000063C4: 24585881
	v_add_u32_e32 v45, v44, v45                                // 0000000063C8: 685A5B2C
	v_lshlrev_b32_e32 v44, 2, v45                              // 0000000063CC: 24585A82
	s_mul_i32 s60, 0x100, s7                                   // 0000000063D0: 923C07FF 00000100
	v_add_u32_e64 v44, v44, s60                                // 0000000063D8: D134002C 0000792C
	ds_write_b32 v44, v128 offset:18688                        // 0000000063E0: D81A4900 0000802C
	ds_write_b32 v44, v129 offset:20736                        // 0000000063E8: D81A5100 0000812C
	ds_write_b32 v44, v130 offset:19712                        // 0000000063F0: D81A4D00 0000822C
	ds_write_b32 v44, v131 offset:21760                        // 0000000063F8: D81A5500 0000832C
	s_waitcnt lgkmcnt(0)                                       // 000000006400: BF8CC07F
	s_barrier                                                  // 000000006404: BF8A0000
	v_lshrrev_b32_e32 v44, 4, v0                               // 000000006408: 20580084
	v_lshlrev_b32_e32 v45, 6, v44                              // 00000000640C: 245A5886
	v_and_b32_e32 v44, 15, v0                                  // 000000006410: 2658008F
	v_lshlrev_b32_e32 v44, 1, v44                              // 000000006414: 24585881
	v_add_u32_e32 v45, v44, v45                                // 000000006418: 685A5B2C
	v_lshlrev_b32_e32 v44, 2, v45                              // 00000000641C: 24585A82
	ds_read_b64 v[128:129], v44 offset:18688                   // 000000006420: D8EC4900 8000002C
	ds_read_b64 v[130:131], v44 offset:18816                   // 000000006428: D8EC4980 8200002C
	ds_read_b64 v[132:133], v44 offset:19712                   // 000000006430: D8EC4D00 8400002C
	ds_read_b64 v[134:135], v44 offset:19840                   // 000000006438: D8EC4D80 8600002C
	ds_read_b64 v[136:137], v44 offset:20736                   // 000000006440: D8EC5100 8800002C
	ds_read_b64 v[138:139], v44 offset:20864                   // 000000006448: D8EC5180 8A00002C
	ds_read_b64 v[140:141], v44 offset:21760                   // 000000006450: D8EC5500 8C00002C
	ds_read_b64 v[142:143], v44 offset:21888                   // 000000006458: D8EC5580 8E00002C
	s_add_u32 s12, s56, s12                                    // 000000006460: 800C0C38
	s_addc_u32 s13, 0, s13                                     // 000000006464: 820D0D80
	s_add_u32 s16, s79, s16                                    // 000000006468: 8010104F
	s_addc_u32 s17, 0, s17                                     // 00000000646C: 82111180
	s_mov_b32 s80, 0                                           // 000000006470: BED00080
	s_waitcnt vmcnt(0) expcnt(0) lgkmcnt(0)                    // 000000006474: BF8C0000

0000000000006478 <label_0D9E>:
	s_waitcnt vmcnt(21)                                        // 000000006478: BF8C4F75
	s_barrier                                                  // 00000000647C: BF8A0000
	v_mfma_f32_16x16x32_fp8_fp8 v[144:147], a[0:1], v[128:129], 0// 000000006480: D3F30090 0A030100
	buffer_load_dwordx4 a[32:35], v34, s[12:15], 0 offen       // 000000006488: E05C1000 80832022
	v_mfma_f32_16x16x32_fp8_fp8 v[144:147], a[2:3], v[130:131], v[144:147]// 000000006490: D3F30090 0E430502
	v_mfma_f32_16x16x32_fp8_fp8 v[148:151], a[0:1], v[136:137], 0// 000000006498: D3F30094 0A031100
	v_mfma_f32_16x16x32_fp8_fp8 v[148:151], a[2:3], v[138:139], v[148:151]// 0000000064A0: D3F30094 0E531502
	v_mfma_f32_16x16x32_fp8_fp8 v[152:155], a[4:5], v[128:129], 0// 0000000064A8: D3F30098 0A030104
	buffer_load_dwordx4 a[36:39], v35, s[12:15], 0 offen       // 0000000064B0: E05C1000 80832423
	v_mfma_f32_16x16x32_fp8_fp8 v[152:155], a[6:7], v[130:131], v[152:155]// 0000000064B8: D3F30098 0E630506
	v_mfma_f32_16x16x32_fp8_fp8 v[156:159], a[4:5], v[136:137], 0// 0000000064C0: D3F3009C 0A031104
	v_mfma_f32_16x16x32_fp8_fp8 v[156:159], a[6:7], v[138:139], v[156:159]// 0000000064C8: D3F3009C 0E731506
	v_mfma_f32_16x16x32_fp8_fp8 v[160:163], a[8:9], v[128:129], 0// 0000000064D0: D3F300A0 0A030108
	buffer_load_dwordx4 a[40:43], v36, s[12:15], 0 offen       // 0000000064D8: E05C1000 80832824
	v_mfma_f32_16x16x32_fp8_fp8 v[160:163], a[10:11], v[130:131], v[160:163]// 0000000064E0: D3F300A0 0E83050A
	v_mfma_f32_16x16x32_fp8_fp8 v[164:167], a[8:9], v[136:137], 0// 0000000064E8: D3F300A4 0A031108
	v_mfma_f32_16x16x32_fp8_fp8 v[164:167], a[10:11], v[138:139], v[164:167]// 0000000064F0: D3F300A4 0E93150A
	v_mfma_f32_16x16x32_fp8_fp8 v[168:171], a[12:13], v[128:129], 0// 0000000064F8: D3F300A8 0A03010C
	buffer_load_dwordx4 a[44:47], v37, s[12:15], 0 offen       // 000000006500: E05C1000 80832C25
	s_add_u32 s12, s78, s12                                    // 000000006508: 800C0C4E
	s_addc_u32 s13, 0, s13                                     // 00000000650C: 820D0D80
	v_mfma_f32_16x16x32_fp8_fp8 v[168:171], a[14:15], v[130:131], v[168:171]// 000000006510: D3F300A8 0EA3050E
	v_mfma_f32_16x16x32_fp8_fp8 v[172:175], a[12:13], v[136:137], 0// 000000006518: D3F300AC 0A03110C
	v_mfma_f32_16x16x32_fp8_fp8 v[172:175], a[14:15], v[138:139], v[172:175]// 000000006520: D3F300AC 0EB3150E
	s_waitcnt vmcnt(20)                                        // 000000006528: BF8C4F74
	v_mfma_f32_16x16x32_fp8_fp8 v[144:147], a[16:17], v[132:133], v[144:147]// 00000000652C: D3F30090 0E430910
	buffer_load_dwordx4 a[48:51], v34, s[12:15], 0 offen       // 000000006534: E05C1000 80833022
	v_mfma_f32_16x16x32_fp8_fp8 v[144:147], a[18:19], v[134:135], v[144:147]// 00000000653C: D3F30090 0E430D12
	v_mfma_f32_16x16x32_fp8_fp8 v[148:151], a[16:17], v[140:141], v[148:151]// 000000006544: D3F30094 0E531910
	buffer_load_dword v12, v5, s[16:19], 0 offen               // 00000000654C: E0501000 80040C05
	v_mfma_f32_16x16x32_fp8_fp8 v[148:151], a[18:19], v[142:143], v[148:151]// 000000006554: D3F30094 0E531D12
	v_mfma_f32_16x16x32_fp8_fp8 v[152:155], a[20:21], v[132:133], v[152:155]// 00000000655C: D3F30098 0E630914
	buffer_load_dwordx4 a[52:55], v35, s[12:15], 0 offen       // 000000006564: E05C1000 80833423
	v_mfma_f32_16x16x32_fp8_fp8 v[152:155], a[22:23], v[134:135], v[152:155]// 00000000656C: D3F30098 0E630D16
	v_mfma_f32_16x16x32_fp8_fp8 v[156:159], a[20:21], v[140:141], v[156:159]// 000000006574: D3F3009C 0E731914
	v_mfma_f32_16x16x32_fp8_fp8 v[156:159], a[22:23], v[142:143], v[156:159]// 00000000657C: D3F3009C 0E731D16
	v_mfma_f32_16x16x32_fp8_fp8 v[160:163], a[24:25], v[132:133], v[160:163]// 000000006584: D3F300A0 0E830918
	buffer_load_dwordx4 a[56:59], v36, s[12:15], 0 offen       // 00000000658C: E05C1000 80833824
	v_mfma_f32_16x16x32_fp8_fp8 v[160:163], a[26:27], v[134:135], v[160:163]// 000000006594: D3F300A0 0E830D1A
	v_mfma_f32_16x16x32_fp8_fp8 v[164:167], a[24:25], v[140:141], v[164:167]// 00000000659C: D3F300A4 0E931918
	v_mfma_f32_16x16x32_fp8_fp8 v[164:167], a[26:27], v[142:143], v[164:167]// 0000000065A4: D3F300A4 0E931D1A
	v_mfma_f32_16x16x32_fp8_fp8 v[168:171], a[28:29], v[132:133], v[168:171]// 0000000065AC: D3F300A8 0EA3091C
	buffer_load_dwordx4 a[60:63], v37, s[12:15], 0 offen       // 0000000065B4: E05C1000 80833C25
	v_mfma_f32_16x16x32_fp8_fp8 v[168:171], a[30:31], v[134:135], v[168:171]// 0000000065BC: D3F300A8 0EA30D1E
	v_mfma_f32_16x16x32_fp8_fp8 v[172:175], a[28:29], v[140:141], v[172:175]// 0000000065C4: D3F300AC 0EB3191C
	v_mfma_f32_16x16x32_fp8_fp8 v[172:175], a[30:31], v[142:143], v[172:175]// 0000000065CC: D3F300AC 0EB31D1E
	s_add_u32 s60, 0x200, s80                                  // 0000000065D4: 803C50FF 00000200
	s_cmp_lt_u32 s60, s81                                      // 0000000065DC: BF0A513C
	s_cselect_b32 s56, s56, 0                                  // 0000000065E0: 85388038
	s_cselect_b32 s78, s78, 0                                  // 0000000065E4: 854E804E
	s_cselect_b32 s79, s79, 0                                  // 0000000065E8: 854F804F
	s_add_u32 s12, s56, s12                                    // 0000000065EC: 800C0C38
	s_addc_u32 s13, 0, s13                                     // 0000000065F0: 820D0D80
	s_add_u32 s16, s79, s16                                    // 0000000065F4: 8010104F
	s_addc_u32 s17, 0, s17                                     // 0000000065F8: 82111180
	v_mul_f32_e32 v144, v22, v144                              // 0000000065FC: 0B212116
	v_mul_f32_e32 v145, v22, v145                              // 000000006600: 0B232316
	v_mul_f32_e32 v146, v22, v146                              // 000000006604: 0B252516
	v_mul_f32_e32 v147, v22, v147                              // 000000006608: 0B272716
	v_mul_f32_dpp v144, v11, v144 row_newbcast:0 row_mask:0xf bank_mask:0xf// 00000000660C: 0B2120FA FF01500B
	v_mul_f32_dpp v145, v11, v145 row_newbcast:1 row_mask:0xf bank_mask:0xf// 000000006614: 0B2322FA FF01510B
	v_mul_f32_dpp v146, v11, v146 row_newbcast:2 row_mask:0xf bank_mask:0xf// 00000000661C: 0B2524FA FF01520B
	v_mul_f32_dpp v147, v11, v147 row_newbcast:3 row_mask:0xf bank_mask:0xf// 000000006624: 0B2726FA FF01530B
	v_mul_f32_e32 v144, v17, v144                              // 00000000662C: 0B212111
	v_mul_f32_e32 v145, v17, v145                              // 000000006630: 0B232311
	v_mul_f32_e32 v146, v17, v146                              // 000000006634: 0B252511
	v_mul_f32_e32 v147, v17, v147                              // 000000006638: 0B272711
	v_mul_f32_e32 v148, v23, v148                              // 00000000663C: 0B292917
	v_mul_f32_e32 v149, v23, v149                              // 000000006640: 0B2B2B17
	v_mul_f32_e32 v150, v23, v150                              // 000000006644: 0B2D2D17
	v_mul_f32_e32 v151, v23, v151                              // 000000006648: 0B2F2F17
	v_mul_f32_dpp v148, v11, v148 row_newbcast:0 row_mask:0xf bank_mask:0xf// 00000000664C: 0B2928FA FF01500B
	v_mul_f32_dpp v149, v11, v149 row_newbcast:1 row_mask:0xf bank_mask:0xf// 000000006654: 0B2B2AFA FF01510B
	v_mul_f32_dpp v150, v11, v150 row_newbcast:2 row_mask:0xf bank_mask:0xf// 00000000665C: 0B2D2CFA FF01520B
	v_mul_f32_dpp v151, v11, v151 row_newbcast:3 row_mask:0xf bank_mask:0xf// 000000006664: 0B2F2EFA FF01530B
	v_mul_f32_e32 v148, v18, v148                              // 00000000666C: 0B292912
	v_mul_f32_e32 v149, v18, v149                              // 000000006670: 0B2B2B12
	v_mul_f32_e32 v150, v18, v150                              // 000000006674: 0B2D2D12
	v_mul_f32_e32 v151, v18, v151                              // 000000006678: 0B2F2F12
	v_mul_f32_e32 v152, v22, v152                              // 00000000667C: 0B313116
	v_mul_f32_e32 v153, v22, v153                              // 000000006680: 0B333316
	v_mul_f32_e32 v154, v22, v154                              // 000000006684: 0B353516
	v_mul_f32_e32 v155, v22, v155                              // 000000006688: 0B373716
	v_mul_f32_dpp v152, v11, v152 row_newbcast:4 row_mask:0xf bank_mask:0xf// 00000000668C: 0B3130FA FF01540B
	v_mul_f32_dpp v153, v11, v153 row_newbcast:5 row_mask:0xf bank_mask:0xf// 000000006694: 0B3332FA FF01550B
	v_mul_f32_dpp v154, v11, v154 row_newbcast:6 row_mask:0xf bank_mask:0xf// 00000000669C: 0B3534FA FF01560B
	v_mul_f32_dpp v155, v11, v155 row_newbcast:7 row_mask:0xf bank_mask:0xf// 0000000066A4: 0B3736FA FF01570B
	v_mul_f32_e32 v152, v17, v152                              // 0000000066AC: 0B313111
	v_mul_f32_e32 v153, v17, v153                              // 0000000066B0: 0B333311
	v_mul_f32_e32 v154, v17, v154                              // 0000000066B4: 0B353511
	v_mul_f32_e32 v155, v17, v155                              // 0000000066B8: 0B373711
	v_mul_f32_e32 v156, v23, v156                              // 0000000066BC: 0B393917
	v_mul_f32_e32 v157, v23, v157                              // 0000000066C0: 0B3B3B17
	v_mul_f32_e32 v158, v23, v158                              // 0000000066C4: 0B3D3D17
	v_mul_f32_e32 v159, v23, v159                              // 0000000066C8: 0B3F3F17
	v_mul_f32_dpp v156, v11, v156 row_newbcast:4 row_mask:0xf bank_mask:0xf// 0000000066CC: 0B3938FA FF01540B
	v_mul_f32_dpp v157, v11, v157 row_newbcast:5 row_mask:0xf bank_mask:0xf// 0000000066D4: 0B3B3AFA FF01550B
	v_mul_f32_dpp v158, v11, v158 row_newbcast:6 row_mask:0xf bank_mask:0xf// 0000000066DC: 0B3D3CFA FF01560B
	v_mul_f32_dpp v159, v11, v159 row_newbcast:7 row_mask:0xf bank_mask:0xf// 0000000066E4: 0B3F3EFA FF01570B
	v_mul_f32_e32 v156, v18, v156                              // 0000000066EC: 0B393912
	v_mul_f32_e32 v157, v18, v157                              // 0000000066F0: 0B3B3B12
	v_mul_f32_e32 v158, v18, v158                              // 0000000066F4: 0B3D3D12
	v_mul_f32_e32 v159, v18, v159                              // 0000000066F8: 0B3F3F12
	v_mul_f32_e32 v160, v22, v160                              // 0000000066FC: 0B414116
	v_mul_f32_e32 v161, v22, v161                              // 000000006700: 0B434316
	v_mul_f32_e32 v162, v22, v162                              // 000000006704: 0B454516
	v_mul_f32_e32 v163, v22, v163                              // 000000006708: 0B474716
	v_mul_f32_dpp v160, v11, v160 row_newbcast:8 row_mask:0xf bank_mask:0xf// 00000000670C: 0B4140FA FF01580B
	v_mul_f32_dpp v161, v11, v161 row_newbcast:9 row_mask:0xf bank_mask:0xf// 000000006714: 0B4342FA FF01590B
	v_mul_f32_dpp v162, v11, v162 row_newbcast:10 row_mask:0xf bank_mask:0xf// 00000000671C: 0B4544FA FF015A0B
	v_mul_f32_dpp v163, v11, v163 row_newbcast:11 row_mask:0xf bank_mask:0xf// 000000006724: 0B4746FA FF015B0B
	v_mul_f32_e32 v160, v17, v160                              // 00000000672C: 0B414111
	v_mul_f32_e32 v161, v17, v161                              // 000000006730: 0B434311
	v_mul_f32_e32 v162, v17, v162                              // 000000006734: 0B454511
	v_mul_f32_e32 v163, v17, v163                              // 000000006738: 0B474711
	v_mul_f32_e32 v164, v23, v164                              // 00000000673C: 0B494917
	v_mul_f32_e32 v165, v23, v165                              // 000000006740: 0B4B4B17
	v_mul_f32_e32 v166, v23, v166                              // 000000006744: 0B4D4D17
	v_mul_f32_e32 v167, v23, v167                              // 000000006748: 0B4F4F17
	v_mul_f32_dpp v164, v11, v164 row_newbcast:8 row_mask:0xf bank_mask:0xf// 00000000674C: 0B4948FA FF01580B
	v_mul_f32_dpp v165, v11, v165 row_newbcast:9 row_mask:0xf bank_mask:0xf// 000000006754: 0B4B4AFA FF01590B
	v_mul_f32_dpp v166, v11, v166 row_newbcast:10 row_mask:0xf bank_mask:0xf// 00000000675C: 0B4D4CFA FF015A0B
	v_mul_f32_dpp v167, v11, v167 row_newbcast:11 row_mask:0xf bank_mask:0xf// 000000006764: 0B4F4EFA FF015B0B
	v_mul_f32_e32 v164, v18, v164                              // 00000000676C: 0B494912
	v_mul_f32_e32 v165, v18, v165                              // 000000006770: 0B4B4B12
	v_mul_f32_e32 v166, v18, v166                              // 000000006774: 0B4D4D12
	v_mul_f32_e32 v167, v18, v167                              // 000000006778: 0B4F4F12
	v_mul_f32_e32 v168, v22, v168                              // 00000000677C: 0B515116
	v_mul_f32_e32 v169, v22, v169                              // 000000006780: 0B535316
	v_mul_f32_e32 v170, v22, v170                              // 000000006784: 0B555516
	v_mul_f32_e32 v171, v22, v171                              // 000000006788: 0B575716
	v_mul_f32_dpp v168, v11, v168 row_newbcast:12 row_mask:0xf bank_mask:0xf// 00000000678C: 0B5150FA FF015C0B
	v_mul_f32_dpp v169, v11, v169 row_newbcast:13 row_mask:0xf bank_mask:0xf// 000000006794: 0B5352FA FF015D0B
	v_mul_f32_dpp v170, v11, v170 row_newbcast:14 row_mask:0xf bank_mask:0xf// 00000000679C: 0B5554FA FF015E0B
	v_mul_f32_dpp v171, v11, v171 row_newbcast:15 row_mask:0xf bank_mask:0xf// 0000000067A4: 0B5756FA FF015F0B
	v_mul_f32_e32 v168, v17, v168                              // 0000000067AC: 0B515111
	v_mul_f32_e32 v169, v17, v169                              // 0000000067B0: 0B535311
	v_mul_f32_e32 v170, v17, v170                              // 0000000067B4: 0B555511
	v_mul_f32_e32 v171, v17, v171                              // 0000000067B8: 0B575711
	v_mul_f32_e32 v172, v23, v172                              // 0000000067BC: 0B595917
	v_mul_f32_e32 v173, v23, v173                              // 0000000067C0: 0B5B5B17
	v_mul_f32_e32 v174, v23, v174                              // 0000000067C4: 0B5D5D17
	v_mul_f32_e32 v175, v23, v175                              // 0000000067C8: 0B5F5F17
	v_mul_f32_dpp v172, v11, v172 row_newbcast:12 row_mask:0xf bank_mask:0xf// 0000000067CC: 0B5958FA FF015C0B
	v_mul_f32_dpp v173, v11, v173 row_newbcast:13 row_mask:0xf bank_mask:0xf// 0000000067D4: 0B5B5AFA FF015D0B
	v_mul_f32_dpp v174, v11, v174 row_newbcast:14 row_mask:0xf bank_mask:0xf// 0000000067DC: 0B5D5CFA FF015E0B
	v_mul_f32_dpp v175, v11, v175 row_newbcast:15 row_mask:0xf bank_mask:0xf// 0000000067E4: 0B5F5EFA FF015F0B
	v_mul_f32_e32 v172, v18, v172                              // 0000000067EC: 0B595912
	v_mul_f32_e32 v173, v18, v173                              // 0000000067F0: 0B5B5B12
	v_mul_f32_e32 v174, v18, v174                              // 0000000067F4: 0B5D5D12
	v_mul_f32_e32 v175, v18, v175                              // 0000000067F8: 0B5F5F12
	v_cvt_pkrtz_f16_f32 v144, v144, v145                       // 0000000067FC: D2960090 00032390
	v_cvt_pkrtz_f16_f32 v145, v146, v147                       // 000000006804: D2960091 00032792
	v_cvt_pkrtz_f16_f32 v146, v148, v149                       // 00000000680C: D2960092 00032B94
	v_cvt_pkrtz_f16_f32 v147, v150, v151                       // 000000006814: D2960093 00032F96
	v_cvt_pkrtz_f16_f32 v148, v152, v153                       // 00000000681C: D2960094 00033398
	v_cvt_pkrtz_f16_f32 v149, v154, v155                       // 000000006824: D2960095 0003379A
	v_cvt_pkrtz_f16_f32 v150, v156, v157                       // 00000000682C: D2960096 00033B9C
	v_cvt_pkrtz_f16_f32 v151, v158, v159                       // 000000006834: D2960097 00033F9E
	v_cvt_pkrtz_f16_f32 v152, v160, v161                       // 00000000683C: D2960098 000343A0
	v_cvt_pkrtz_f16_f32 v153, v162, v163                       // 000000006844: D2960099 000347A2
	v_cvt_pkrtz_f16_f32 v154, v164, v165                       // 00000000684C: D296009A 00034BA4
	v_cvt_pkrtz_f16_f32 v155, v166, v167                       // 000000006854: D296009B 00034FA6
	v_cvt_pkrtz_f16_f32 v156, v168, v169                       // 00000000685C: D296009C 000353A8
	v_cvt_pkrtz_f16_f32 v157, v170, v171                       // 000000006864: D296009D 000357AA
	v_cvt_pkrtz_f16_f32 v158, v172, v173                       // 00000000686C: D296009E 00035BAC
	v_cvt_pkrtz_f16_f32 v159, v174, v175                       // 000000006874: D296009F 00035FAE
	ds_write_b64 v3, v[144:145] offset:22784                   // 00000000687C: D89A5900 00009003
	ds_write_b64 v3, v[146:147] offset:31488                   // 000000006884: D89A7B00 00009203
	ds_write_b64 v3, v[148:149] offset:24960                   // 00000000688C: D89A6180 00009403
	ds_write_b64 v3, v[150:151] offset:33664                   // 000000006894: D89A8380 00009603
	ds_write_b64 v3, v[152:153] offset:27136                   // 00000000689C: D89A6A00 00009803
	ds_write_b64 v3, v[154:155] offset:35840                   // 0000000068A4: D89A8C00 00009A03
	ds_write_b64 v3, v[156:157] offset:29312                   // 0000000068AC: D89A7280 00009C03
	ds_write_b64 v3, v[158:159] offset:38016                   // 0000000068B4: D89A9480 00009E03
	s_waitcnt lgkmcnt(0)                                       // 0000000068BC: BF8CC07F
	s_barrier                                                  // 0000000068C0: BF8A0000
	ds_read_b32 v64, v4 offset:22784                           // 0000000068C4: D86C5900 40000004
	ds_read_b32 v65, v4 offset:27136                           // 0000000068CC: D86C6A00 41000004
	ds_read_b32 v66, v4 offset:22816                           // 0000000068D4: D86C5920 42000004
	ds_read_b32 v67, v4 offset:27168                           // 0000000068DC: D86C6A20 43000004
	ds_read_b32 v68, v4 offset:22848                           // 0000000068E4: D86C5940 44000004
	ds_read_b32 v69, v4 offset:27200                           // 0000000068EC: D86C6A40 45000004
	ds_read_b32 v70, v4 offset:22880                           // 0000000068F4: D86C5960 46000004
	ds_read_b32 v71, v4 offset:27232                           // 0000000068FC: D86C6A60 47000004
	ds_read_b32 v72, v4 offset:31488                           // 000000006904: D86C7B00 48000004
	ds_read_b32 v73, v4 offset:35840                           // 00000000690C: D86C8C00 49000004
	ds_read_b32 v74, v4 offset:31520                           // 000000006914: D86C7B20 4A000004
	ds_read_b32 v75, v4 offset:35872                           // 00000000691C: D86C8C20 4B000004
	ds_read_b32 v76, v4 offset:31552                           // 000000006924: D86C7B40 4C000004
	ds_read_b32 v77, v4 offset:35904                           // 00000000692C: D86C8C40 4D000004
	ds_read_b32 v78, v4 offset:31584                           // 000000006934: D86C7B60 4E000004
	ds_read_b32 v79, v4 offset:35936                           // 00000000693C: D86C8C60 4F000004
	s_waitcnt lgkmcnt(0)                                       // 000000006944: BF8CC07F
	s_mov_b64 exec, s[20:21]                                   // 000000006948: BEFE0114
	global_atomic_pk_add_f16 v80, v64, s[8:9]                  // 00000000694C: DD388000 00084050
	s_mov_b64 exec, s[36:37]                                   // 000000006954: BEFE0124
	s_mov_b64 exec, s[20:21]                                   // 000000006958: BEFE0114
	global_atomic_pk_add_f16 v80, v65, s[8:9] offset:256       // 00000000695C: DD388100 00084150
	s_mov_b64 exec, s[36:37]                                   // 000000006964: BEFE0124
	s_mov_b64 exec, s[22:23]                                   // 000000006968: BEFE0116
	global_atomic_pk_add_f16 v82, v66, s[8:9]                  // 00000000696C: DD388000 00084252
	s_mov_b64 exec, s[36:37]                                   // 000000006974: BEFE0124
	s_mov_b64 exec, s[22:23]                                   // 000000006978: BEFE0116
	global_atomic_pk_add_f16 v82, v67, s[8:9] offset:256       // 00000000697C: DD388100 00084352
	s_mov_b64 exec, s[36:37]                                   // 000000006984: BEFE0124
	s_mov_b64 exec, s[24:25]                                   // 000000006988: BEFE0118
	global_atomic_pk_add_f16 v84, v68, s[8:9]                  // 00000000698C: DD388000 00084454
	s_mov_b64 exec, s[36:37]                                   // 000000006994: BEFE0124
	s_mov_b64 exec, s[24:25]                                   // 000000006998: BEFE0118
	global_atomic_pk_add_f16 v84, v69, s[8:9] offset:256       // 00000000699C: DD388100 00084554
	s_mov_b64 exec, s[36:37]                                   // 0000000069A4: BEFE0124
	s_mov_b64 exec, s[26:27]                                   // 0000000069A8: BEFE011A
	global_atomic_pk_add_f16 v86, v70, s[8:9]                  // 0000000069AC: DD388000 00084656
	s_mov_b64 exec, s[36:37]                                   // 0000000069B4: BEFE0124
	s_mov_b64 exec, s[26:27]                                   // 0000000069B8: BEFE011A
	global_atomic_pk_add_f16 v86, v71, s[8:9] offset:256       // 0000000069BC: DD388100 00084756
	s_mov_b64 exec, s[36:37]                                   // 0000000069C4: BEFE0124
	s_mov_b64 exec, s[28:29]                                   // 0000000069C8: BEFE011C
	global_atomic_pk_add_f16 v88, v72, s[8:9]                  // 0000000069CC: DD388000 00084858
	s_mov_b64 exec, s[36:37]                                   // 0000000069D4: BEFE0124
	s_mov_b64 exec, s[28:29]                                   // 0000000069D8: BEFE011C
	global_atomic_pk_add_f16 v88, v73, s[8:9] offset:256       // 0000000069DC: DD388100 00084958
	s_mov_b64 exec, s[36:37]                                   // 0000000069E4: BEFE0124
	s_mov_b64 exec, s[30:31]                                   // 0000000069E8: BEFE011E
	global_atomic_pk_add_f16 v90, v74, s[8:9]                  // 0000000069EC: DD388000 00084A5A
	s_mov_b64 exec, s[36:37]                                   // 0000000069F4: BEFE0124
	s_mov_b64 exec, s[30:31]                                   // 0000000069F8: BEFE011E
	global_atomic_pk_add_f16 v90, v75, s[8:9] offset:256       // 0000000069FC: DD388100 00084B5A
	s_mov_b64 exec, s[36:37]                                   // 000000006A04: BEFE0124
	s_mov_b64 exec, s[32:33]                                   // 000000006A08: BEFE0120
	global_atomic_pk_add_f16 v92, v76, s[8:9]                  // 000000006A0C: DD388000 00084C5C
	s_mov_b64 exec, s[36:37]                                   // 000000006A14: BEFE0124
	s_mov_b64 exec, s[32:33]                                   // 000000006A18: BEFE0120
	global_atomic_pk_add_f16 v92, v77, s[8:9] offset:256       // 000000006A1C: DD388100 00084D5C
	s_mov_b64 exec, s[36:37]                                   // 000000006A24: BEFE0124
	s_mov_b64 exec, s[34:35]                                   // 000000006A28: BEFE0122
	global_atomic_pk_add_f16 v94, v78, s[8:9]                  // 000000006A2C: DD388000 00084E5E
	s_mov_b64 exec, s[36:37]                                   // 000000006A34: BEFE0124
	s_mov_b64 exec, s[34:35]                                   // 000000006A38: BEFE0122
	global_atomic_pk_add_f16 v94, v79, s[8:9] offset:256       // 000000006A3C: DD388100 00084F5E
	s_mov_b64 exec, s[36:37]                                   // 000000006A44: BEFE0124
	s_add_u32 s8, s59, s8                                      // 000000006A48: 8008083B
	s_addc_u32 s9, 0, s9                                       // 000000006A4C: 82090980
	s_addk_i32 s80, 0x100                                      // 000000006A50: B7500100
	s_cmp_lt_i32 s80, s81                                      // 000000006A54: BF045150
	s_cbranch_scc0 label_098E                                  // 000000006A58: BF84FA77
	s_waitcnt vmcnt(21)                                        // 000000006A5C: BF8C4F75
	s_barrier                                                  // 000000006A60: BF8A0000
	v_mfma_f32_16x16x32_fp8_fp8 v[176:179], a[32:33], v[128:129], 0// 000000006A64: D3F300B0 0A030120
	buffer_load_dwordx4 a[0:3], v34, s[12:15], 0 offen         // 000000006A6C: E05C1000 80830022
	v_mfma_f32_16x16x32_fp8_fp8 v[176:179], a[34:35], v[130:131], v[176:179]// 000000006A74: D3F300B0 0EC30522
	v_mfma_f32_16x16x32_fp8_fp8 v[180:183], a[32:33], v[136:137], 0// 000000006A7C: D3F300B4 0A031120
	v_mfma_f32_16x16x32_fp8_fp8 v[180:183], a[34:35], v[138:139], v[180:183]// 000000006A84: D3F300B4 0ED31522
	v_mfma_f32_16x16x32_fp8_fp8 v[184:187], a[36:37], v[128:129], 0// 000000006A8C: D3F300B8 0A030124
	buffer_load_dwordx4 a[4:7], v35, s[12:15], 0 offen         // 000000006A94: E05C1000 80830423
	v_mfma_f32_16x16x32_fp8_fp8 v[184:187], a[38:39], v[130:131], v[184:187]// 000000006A9C: D3F300B8 0EE30526
	v_mfma_f32_16x16x32_fp8_fp8 v[188:191], a[36:37], v[136:137], 0// 000000006AA4: D3F300BC 0A031124
	v_mfma_f32_16x16x32_fp8_fp8 v[188:191], a[38:39], v[138:139], v[188:191]// 000000006AAC: D3F300BC 0EF31526
	v_mfma_f32_16x16x32_fp8_fp8 v[192:195], a[40:41], v[128:129], 0// 000000006AB4: D3F300C0 0A030128
	buffer_load_dwordx4 a[8:11], v36, s[12:15], 0 offen        // 000000006ABC: E05C1000 80830824
	v_mfma_f32_16x16x32_fp8_fp8 v[192:195], a[42:43], v[130:131], v[192:195]// 000000006AC4: D3F300C0 0F03052A
	v_mfma_f32_16x16x32_fp8_fp8 v[196:199], a[40:41], v[136:137], 0// 000000006ACC: D3F300C4 0A031128
	v_mfma_f32_16x16x32_fp8_fp8 v[196:199], a[42:43], v[138:139], v[196:199]// 000000006AD4: D3F300C4 0F13152A
	v_mfma_f32_16x16x32_fp8_fp8 v[200:203], a[44:45], v[128:129], 0// 000000006ADC: D3F300C8 0A03012C
	buffer_load_dwordx4 a[12:15], v37, s[12:15], 0 offen       // 000000006AE4: E05C1000 80830C25
	s_add_u32 s12, s78, s12                                    // 000000006AEC: 800C0C4E
	s_addc_u32 s13, 0, s13                                     // 000000006AF0: 820D0D80
	v_mfma_f32_16x16x32_fp8_fp8 v[200:203], a[46:47], v[130:131], v[200:203]// 000000006AF4: D3F300C8 0F23052E
	v_mfma_f32_16x16x32_fp8_fp8 v[204:207], a[44:45], v[136:137], 0// 000000006AFC: D3F300CC 0A03112C
	v_mfma_f32_16x16x32_fp8_fp8 v[204:207], a[46:47], v[138:139], v[204:207]// 000000006B04: D3F300CC 0F33152E
	s_waitcnt vmcnt(20)                                        // 000000006B0C: BF8C4F74
	v_mfma_f32_16x16x32_fp8_fp8 v[176:179], a[48:49], v[132:133], v[176:179]// 000000006B10: D3F300B0 0EC30930
	buffer_load_dwordx4 a[16:19], v34, s[12:15], 0 offen       // 000000006B18: E05C1000 80831022
	v_mfma_f32_16x16x32_fp8_fp8 v[176:179], a[50:51], v[134:135], v[176:179]// 000000006B20: D3F300B0 0EC30D32
	v_mfma_f32_16x16x32_fp8_fp8 v[180:183], a[48:49], v[140:141], v[180:183]// 000000006B28: D3F300B4 0ED31930
	buffer_load_dword v11, v5, s[16:19], 0 offen               // 000000006B30: E0501000 80040B05
	v_mfma_f32_16x16x32_fp8_fp8 v[180:183], a[50:51], v[142:143], v[180:183]// 000000006B38: D3F300B4 0ED31D32
	v_mfma_f32_16x16x32_fp8_fp8 v[184:187], a[52:53], v[132:133], v[184:187]// 000000006B40: D3F300B8 0EE30934
	buffer_load_dwordx4 a[20:23], v35, s[12:15], 0 offen       // 000000006B48: E05C1000 80831423
	v_mfma_f32_16x16x32_fp8_fp8 v[184:187], a[54:55], v[134:135], v[184:187]// 000000006B50: D3F300B8 0EE30D36
	v_mfma_f32_16x16x32_fp8_fp8 v[188:191], a[52:53], v[140:141], v[188:191]// 000000006B58: D3F300BC 0EF31934
	v_mfma_f32_16x16x32_fp8_fp8 v[188:191], a[54:55], v[142:143], v[188:191]// 000000006B60: D3F300BC 0EF31D36
	v_mfma_f32_16x16x32_fp8_fp8 v[192:195], a[56:57], v[132:133], v[192:195]// 000000006B68: D3F300C0 0F030938
	buffer_load_dwordx4 a[24:27], v36, s[12:15], 0 offen       // 000000006B70: E05C1000 80831824
	v_mfma_f32_16x16x32_fp8_fp8 v[192:195], a[58:59], v[134:135], v[192:195]// 000000006B78: D3F300C0 0F030D3A
	v_mfma_f32_16x16x32_fp8_fp8 v[196:199], a[56:57], v[140:141], v[196:199]// 000000006B80: D3F300C4 0F131938
	v_mfma_f32_16x16x32_fp8_fp8 v[196:199], a[58:59], v[142:143], v[196:199]// 000000006B88: D3F300C4 0F131D3A
	v_mfma_f32_16x16x32_fp8_fp8 v[200:203], a[60:61], v[132:133], v[200:203]// 000000006B90: D3F300C8 0F23093C
	buffer_load_dwordx4 a[28:31], v37, s[12:15], 0 offen       // 000000006B98: E05C1000 80831C25
	v_mfma_f32_16x16x32_fp8_fp8 v[200:203], a[62:63], v[134:135], v[200:203]// 000000006BA0: D3F300C8 0F230D3E
	v_mfma_f32_16x16x32_fp8_fp8 v[204:207], a[60:61], v[140:141], v[204:207]// 000000006BA8: D3F300CC 0F33193C
	v_mfma_f32_16x16x32_fp8_fp8 v[204:207], a[62:63], v[142:143], v[204:207]// 000000006BB0: D3F300CC 0F331D3E
	s_add_u32 s60, 0x200, s80                                  // 000000006BB8: 803C50FF 00000200
	s_cmp_lt_u32 s60, s81                                      // 000000006BC0: BF0A513C
	s_cselect_b32 s56, s56, 0                                  // 000000006BC4: 85388038
	s_cselect_b32 s78, s78, 0                                  // 000000006BC8: 854E804E
	s_cselect_b32 s79, s79, 0                                  // 000000006BCC: 854F804F
	s_add_u32 s12, s56, s12                                    // 000000006BD0: 800C0C38
	s_addc_u32 s13, 0, s13                                     // 000000006BD4: 820D0D80
	s_add_u32 s16, s79, s16                                    // 000000006BD8: 8010104F
	s_addc_u32 s17, 0, s17                                     // 000000006BDC: 82111180
	v_mul_f32_e32 v176, v22, v176                              // 000000006BE0: 0B616116
	v_mul_f32_e32 v177, v22, v177                              // 000000006BE4: 0B636316
	v_mul_f32_e32 v178, v22, v178                              // 000000006BE8: 0B656516
	v_mul_f32_e32 v179, v22, v179                              // 000000006BEC: 0B676716
	v_mul_f32_dpp v176, v12, v176 row_newbcast:0 row_mask:0xf bank_mask:0xf// 000000006BF0: 0B6160FA FF01500C
	v_mul_f32_dpp v177, v12, v177 row_newbcast:1 row_mask:0xf bank_mask:0xf// 000000006BF8: 0B6362FA FF01510C
	v_mul_f32_dpp v178, v12, v178 row_newbcast:2 row_mask:0xf bank_mask:0xf// 000000006C00: 0B6564FA FF01520C
	v_mul_f32_dpp v179, v12, v179 row_newbcast:3 row_mask:0xf bank_mask:0xf// 000000006C08: 0B6766FA FF01530C
	v_mul_f32_e32 v176, v17, v176                              // 000000006C10: 0B616111
	v_mul_f32_e32 v177, v17, v177                              // 000000006C14: 0B636311
	v_mul_f32_e32 v178, v17, v178                              // 000000006C18: 0B656511
	v_mul_f32_e32 v179, v17, v179                              // 000000006C1C: 0B676711
	v_mul_f32_e32 v180, v23, v180                              // 000000006C20: 0B696917
	v_mul_f32_e32 v181, v23, v181                              // 000000006C24: 0B6B6B17
	v_mul_f32_e32 v182, v23, v182                              // 000000006C28: 0B6D6D17
	v_mul_f32_e32 v183, v23, v183                              // 000000006C2C: 0B6F6F17
	v_mul_f32_dpp v180, v12, v180 row_newbcast:0 row_mask:0xf bank_mask:0xf// 000000006C30: 0B6968FA FF01500C
	v_mul_f32_dpp v181, v12, v181 row_newbcast:1 row_mask:0xf bank_mask:0xf// 000000006C38: 0B6B6AFA FF01510C
	v_mul_f32_dpp v182, v12, v182 row_newbcast:2 row_mask:0xf bank_mask:0xf// 000000006C40: 0B6D6CFA FF01520C
	v_mul_f32_dpp v183, v12, v183 row_newbcast:3 row_mask:0xf bank_mask:0xf// 000000006C48: 0B6F6EFA FF01530C
	v_mul_f32_e32 v180, v18, v180                              // 000000006C50: 0B696912
	v_mul_f32_e32 v181, v18, v181                              // 000000006C54: 0B6B6B12
	v_mul_f32_e32 v182, v18, v182                              // 000000006C58: 0B6D6D12
	v_mul_f32_e32 v183, v18, v183                              // 000000006C5C: 0B6F6F12
	v_mul_f32_e32 v184, v22, v184                              // 000000006C60: 0B717116
	v_mul_f32_e32 v185, v22, v185                              // 000000006C64: 0B737316
	v_mul_f32_e32 v186, v22, v186                              // 000000006C68: 0B757516
	v_mul_f32_e32 v187, v22, v187                              // 000000006C6C: 0B777716
	v_mul_f32_dpp v184, v12, v184 row_newbcast:4 row_mask:0xf bank_mask:0xf// 000000006C70: 0B7170FA FF01540C
	v_mul_f32_dpp v185, v12, v185 row_newbcast:5 row_mask:0xf bank_mask:0xf// 000000006C78: 0B7372FA FF01550C
	v_mul_f32_dpp v186, v12, v186 row_newbcast:6 row_mask:0xf bank_mask:0xf// 000000006C80: 0B7574FA FF01560C
	v_mul_f32_dpp v187, v12, v187 row_newbcast:7 row_mask:0xf bank_mask:0xf// 000000006C88: 0B7776FA FF01570C
	v_mul_f32_e32 v184, v17, v184                              // 000000006C90: 0B717111
	v_mul_f32_e32 v185, v17, v185                              // 000000006C94: 0B737311
	v_mul_f32_e32 v186, v17, v186                              // 000000006C98: 0B757511
	v_mul_f32_e32 v187, v17, v187                              // 000000006C9C: 0B777711
	v_mul_f32_e32 v188, v23, v188                              // 000000006CA0: 0B797917
	v_mul_f32_e32 v189, v23, v189                              // 000000006CA4: 0B7B7B17
	v_mul_f32_e32 v190, v23, v190                              // 000000006CA8: 0B7D7D17
	v_mul_f32_e32 v191, v23, v191                              // 000000006CAC: 0B7F7F17
	v_mul_f32_dpp v188, v12, v188 row_newbcast:4 row_mask:0xf bank_mask:0xf// 000000006CB0: 0B7978FA FF01540C
	v_mul_f32_dpp v189, v12, v189 row_newbcast:5 row_mask:0xf bank_mask:0xf// 000000006CB8: 0B7B7AFA FF01550C
	v_mul_f32_dpp v190, v12, v190 row_newbcast:6 row_mask:0xf bank_mask:0xf// 000000006CC0: 0B7D7CFA FF01560C
	v_mul_f32_dpp v191, v12, v191 row_newbcast:7 row_mask:0xf bank_mask:0xf// 000000006CC8: 0B7F7EFA FF01570C
	v_mul_f32_e32 v188, v18, v188                              // 000000006CD0: 0B797912
	v_mul_f32_e32 v189, v18, v189                              // 000000006CD4: 0B7B7B12
	v_mul_f32_e32 v190, v18, v190                              // 000000006CD8: 0B7D7D12
	v_mul_f32_e32 v191, v18, v191                              // 000000006CDC: 0B7F7F12
	v_mul_f32_e32 v192, v22, v192                              // 000000006CE0: 0B818116
	v_mul_f32_e32 v193, v22, v193                              // 000000006CE4: 0B838316
	v_mul_f32_e32 v194, v22, v194                              // 000000006CE8: 0B858516
	v_mul_f32_e32 v195, v22, v195                              // 000000006CEC: 0B878716
	v_mul_f32_dpp v192, v12, v192 row_newbcast:8 row_mask:0xf bank_mask:0xf// 000000006CF0: 0B8180FA FF01580C
	v_mul_f32_dpp v193, v12, v193 row_newbcast:9 row_mask:0xf bank_mask:0xf// 000000006CF8: 0B8382FA FF01590C
	v_mul_f32_dpp v194, v12, v194 row_newbcast:10 row_mask:0xf bank_mask:0xf// 000000006D00: 0B8584FA FF015A0C
	v_mul_f32_dpp v195, v12, v195 row_newbcast:11 row_mask:0xf bank_mask:0xf// 000000006D08: 0B8786FA FF015B0C
	v_mul_f32_e32 v192, v17, v192                              // 000000006D10: 0B818111
	v_mul_f32_e32 v193, v17, v193                              // 000000006D14: 0B838311
	v_mul_f32_e32 v194, v17, v194                              // 000000006D18: 0B858511
	v_mul_f32_e32 v195, v17, v195                              // 000000006D1C: 0B878711
	v_mul_f32_e32 v196, v23, v196                              // 000000006D20: 0B898917
	v_mul_f32_e32 v197, v23, v197                              // 000000006D24: 0B8B8B17
	v_mul_f32_e32 v198, v23, v198                              // 000000006D28: 0B8D8D17
	v_mul_f32_e32 v199, v23, v199                              // 000000006D2C: 0B8F8F17
	v_mul_f32_dpp v196, v12, v196 row_newbcast:8 row_mask:0xf bank_mask:0xf// 000000006D30: 0B8988FA FF01580C
	v_mul_f32_dpp v197, v12, v197 row_newbcast:9 row_mask:0xf bank_mask:0xf// 000000006D38: 0B8B8AFA FF01590C
	v_mul_f32_dpp v198, v12, v198 row_newbcast:10 row_mask:0xf bank_mask:0xf// 000000006D40: 0B8D8CFA FF015A0C
	v_mul_f32_dpp v199, v12, v199 row_newbcast:11 row_mask:0xf bank_mask:0xf// 000000006D48: 0B8F8EFA FF015B0C
	v_mul_f32_e32 v196, v18, v196                              // 000000006D50: 0B898912
	v_mul_f32_e32 v197, v18, v197                              // 000000006D54: 0B8B8B12
	v_mul_f32_e32 v198, v18, v198                              // 000000006D58: 0B8D8D12
	v_mul_f32_e32 v199, v18, v199                              // 000000006D5C: 0B8F8F12
	v_mul_f32_e32 v200, v22, v200                              // 000000006D60: 0B919116
	v_mul_f32_e32 v201, v22, v201                              // 000000006D64: 0B939316
	v_mul_f32_e32 v202, v22, v202                              // 000000006D68: 0B959516
	v_mul_f32_e32 v203, v22, v203                              // 000000006D6C: 0B979716
	v_mul_f32_dpp v200, v12, v200 row_newbcast:12 row_mask:0xf bank_mask:0xf// 000000006D70: 0B9190FA FF015C0C
	v_mul_f32_dpp v201, v12, v201 row_newbcast:13 row_mask:0xf bank_mask:0xf// 000000006D78: 0B9392FA FF015D0C
	v_mul_f32_dpp v202, v12, v202 row_newbcast:14 row_mask:0xf bank_mask:0xf// 000000006D80: 0B9594FA FF015E0C
	v_mul_f32_dpp v203, v12, v203 row_newbcast:15 row_mask:0xf bank_mask:0xf// 000000006D88: 0B9796FA FF015F0C
	v_mul_f32_e32 v200, v17, v200                              // 000000006D90: 0B919111
	v_mul_f32_e32 v201, v17, v201                              // 000000006D94: 0B939311
	v_mul_f32_e32 v202, v17, v202                              // 000000006D98: 0B959511
	v_mul_f32_e32 v203, v17, v203                              // 000000006D9C: 0B979711
	v_mul_f32_e32 v204, v23, v204                              // 000000006DA0: 0B999917
	v_mul_f32_e32 v205, v23, v205                              // 000000006DA4: 0B9B9B17
	v_mul_f32_e32 v206, v23, v206                              // 000000006DA8: 0B9D9D17
	v_mul_f32_e32 v207, v23, v207                              // 000000006DAC: 0B9F9F17
	v_mul_f32_dpp v204, v12, v204 row_newbcast:12 row_mask:0xf bank_mask:0xf// 000000006DB0: 0B9998FA FF015C0C
	v_mul_f32_dpp v205, v12, v205 row_newbcast:13 row_mask:0xf bank_mask:0xf// 000000006DB8: 0B9B9AFA FF015D0C
	v_mul_f32_dpp v206, v12, v206 row_newbcast:14 row_mask:0xf bank_mask:0xf// 000000006DC0: 0B9D9CFA FF015E0C
	v_mul_f32_dpp v207, v12, v207 row_newbcast:15 row_mask:0xf bank_mask:0xf// 000000006DC8: 0B9F9EFA FF015F0C
	v_mul_f32_e32 v204, v18, v204                              // 000000006DD0: 0B999912
	v_mul_f32_e32 v205, v18, v205                              // 000000006DD4: 0B9B9B12
	v_mul_f32_e32 v206, v18, v206                              // 000000006DD8: 0B9D9D12
	v_mul_f32_e32 v207, v18, v207                              // 000000006DDC: 0B9F9F12
	v_cvt_pkrtz_f16_f32 v176, v176, v177                       // 000000006DE0: D29600B0 000363B0
	v_cvt_pkrtz_f16_f32 v177, v178, v179                       // 000000006DE8: D29600B1 000367B2
	v_cvt_pkrtz_f16_f32 v178, v180, v181                       // 000000006DF0: D29600B2 00036BB4
	v_cvt_pkrtz_f16_f32 v179, v182, v183                       // 000000006DF8: D29600B3 00036FB6
	v_cvt_pkrtz_f16_f32 v180, v184, v185                       // 000000006E00: D29600B4 000373B8
	v_cvt_pkrtz_f16_f32 v181, v186, v187                       // 000000006E08: D29600B5 000377BA
	v_cvt_pkrtz_f16_f32 v182, v188, v189                       // 000000006E10: D29600B6 00037BBC
	v_cvt_pkrtz_f16_f32 v183, v190, v191                       // 000000006E18: D29600B7 00037FBE
	v_cvt_pkrtz_f16_f32 v184, v192, v193                       // 000000006E20: D29600B8 000383C0
	v_cvt_pkrtz_f16_f32 v185, v194, v195                       // 000000006E28: D29600B9 000387C2
	v_cvt_pkrtz_f16_f32 v186, v196, v197                       // 000000006E30: D29600BA 00038BC4
	v_cvt_pkrtz_f16_f32 v187, v198, v199                       // 000000006E38: D29600BB 00038FC6
	v_cvt_pkrtz_f16_f32 v188, v200, v201                       // 000000006E40: D29600BC 000393C8
	v_cvt_pkrtz_f16_f32 v189, v202, v203                       // 000000006E48: D29600BD 000397CA
	v_cvt_pkrtz_f16_f32 v190, v204, v205                       // 000000006E50: D29600BE 00039BCC
	v_cvt_pkrtz_f16_f32 v191, v206, v207                       // 000000006E58: D29600BF 00039FCE
	ds_write_b64 v3, v[176:177] offset:22784                   // 000000006E60: D89A5900 0000B003
	ds_write_b64 v3, v[178:179] offset:31488                   // 000000006E68: D89A7B00 0000B203
	ds_write_b64 v3, v[180:181] offset:24960                   // 000000006E70: D89A6180 0000B403
	ds_write_b64 v3, v[182:183] offset:33664                   // 000000006E78: D89A8380 0000B603
	ds_write_b64 v3, v[184:185] offset:27136                   // 000000006E80: D89A6A00 0000B803
	ds_write_b64 v3, v[186:187] offset:35840                   // 000000006E88: D89A8C00 0000BA03
	ds_write_b64 v3, v[188:189] offset:29312                   // 000000006E90: D89A7280 0000BC03
	ds_write_b64 v3, v[190:191] offset:38016                   // 000000006E98: D89A9480 0000BE03
	s_waitcnt lgkmcnt(0)                                       // 000000006EA0: BF8CC07F
	s_barrier                                                  // 000000006EA4: BF8A0000
	ds_read_b32 v64, v4 offset:22784                           // 000000006EA8: D86C5900 40000004
	ds_read_b32 v65, v4 offset:27136                           // 000000006EB0: D86C6A00 41000004
	ds_read_b32 v66, v4 offset:22816                           // 000000006EB8: D86C5920 42000004
	ds_read_b32 v67, v4 offset:27168                           // 000000006EC0: D86C6A20 43000004
	ds_read_b32 v68, v4 offset:22848                           // 000000006EC8: D86C5940 44000004
	ds_read_b32 v69, v4 offset:27200                           // 000000006ED0: D86C6A40 45000004
	ds_read_b32 v70, v4 offset:22880                           // 000000006ED8: D86C5960 46000004
	ds_read_b32 v71, v4 offset:27232                           // 000000006EE0: D86C6A60 47000004
	ds_read_b32 v72, v4 offset:31488                           // 000000006EE8: D86C7B00 48000004
	ds_read_b32 v73, v4 offset:35840                           // 000000006EF0: D86C8C00 49000004
	ds_read_b32 v74, v4 offset:31520                           // 000000006EF8: D86C7B20 4A000004
	ds_read_b32 v75, v4 offset:35872                           // 000000006F00: D86C8C20 4B000004
	ds_read_b32 v76, v4 offset:31552                           // 000000006F08: D86C7B40 4C000004
	ds_read_b32 v77, v4 offset:35904                           // 000000006F10: D86C8C40 4D000004
	ds_read_b32 v78, v4 offset:31584                           // 000000006F18: D86C7B60 4E000004
	ds_read_b32 v79, v4 offset:35936                           // 000000006F20: D86C8C60 4F000004
	s_waitcnt lgkmcnt(0)                                       // 000000006F28: BF8CC07F
	s_mov_b64 exec, s[20:21]                                   // 000000006F2C: BEFE0114
	global_atomic_pk_add_f16 v80, v64, s[8:9]                  // 000000006F30: DD388000 00084050
	s_mov_b64 exec, s[36:37]                                   // 000000006F38: BEFE0124
	s_mov_b64 exec, s[20:21]                                   // 000000006F3C: BEFE0114
	global_atomic_pk_add_f16 v80, v65, s[8:9] offset:256       // 000000006F40: DD388100 00084150
	s_mov_b64 exec, s[36:37]                                   // 000000006F48: BEFE0124
	s_mov_b64 exec, s[22:23]                                   // 000000006F4C: BEFE0116
	global_atomic_pk_add_f16 v82, v66, s[8:9]                  // 000000006F50: DD388000 00084252
	s_mov_b64 exec, s[36:37]                                   // 000000006F58: BEFE0124
	s_mov_b64 exec, s[22:23]                                   // 000000006F5C: BEFE0116
	global_atomic_pk_add_f16 v82, v67, s[8:9] offset:256       // 000000006F60: DD388100 00084352
	s_mov_b64 exec, s[36:37]                                   // 000000006F68: BEFE0124
	s_mov_b64 exec, s[24:25]                                   // 000000006F6C: BEFE0118
	global_atomic_pk_add_f16 v84, v68, s[8:9]                  // 000000006F70: DD388000 00084454
	s_mov_b64 exec, s[36:37]                                   // 000000006F78: BEFE0124
	s_mov_b64 exec, s[24:25]                                   // 000000006F7C: BEFE0118
	global_atomic_pk_add_f16 v84, v69, s[8:9] offset:256       // 000000006F80: DD388100 00084554
	s_mov_b64 exec, s[36:37]                                   // 000000006F88: BEFE0124
	s_mov_b64 exec, s[26:27]                                   // 000000006F8C: BEFE011A
	global_atomic_pk_add_f16 v86, v70, s[8:9]                  // 000000006F90: DD388000 00084656
	s_mov_b64 exec, s[36:37]                                   // 000000006F98: BEFE0124
	s_mov_b64 exec, s[26:27]                                   // 000000006F9C: BEFE011A
	global_atomic_pk_add_f16 v86, v71, s[8:9] offset:256       // 000000006FA0: DD388100 00084756
	s_mov_b64 exec, s[36:37]                                   // 000000006FA8: BEFE0124
	s_mov_b64 exec, s[28:29]                                   // 000000006FAC: BEFE011C
	global_atomic_pk_add_f16 v88, v72, s[8:9]                  // 000000006FB0: DD388000 00084858
	s_mov_b64 exec, s[36:37]                                   // 000000006FB8: BEFE0124
	s_mov_b64 exec, s[28:29]                                   // 000000006FBC: BEFE011C
	global_atomic_pk_add_f16 v88, v73, s[8:9] offset:256       // 000000006FC0: DD388100 00084958
	s_mov_b64 exec, s[36:37]                                   // 000000006FC8: BEFE0124
	s_mov_b64 exec, s[30:31]                                   // 000000006FCC: BEFE011E
	global_atomic_pk_add_f16 v90, v74, s[8:9]                  // 000000006FD0: DD388000 00084A5A
	s_mov_b64 exec, s[36:37]                                   // 000000006FD8: BEFE0124
	s_mov_b64 exec, s[30:31]                                   // 000000006FDC: BEFE011E
	global_atomic_pk_add_f16 v90, v75, s[8:9] offset:256       // 000000006FE0: DD388100 00084B5A
	s_mov_b64 exec, s[36:37]                                   // 000000006FE8: BEFE0124
	s_mov_b64 exec, s[32:33]                                   // 000000006FEC: BEFE0120
	global_atomic_pk_add_f16 v92, v76, s[8:9]                  // 000000006FF0: DD388000 00084C5C
	s_mov_b64 exec, s[36:37]                                   // 000000006FF8: BEFE0124
	s_mov_b64 exec, s[32:33]                                   // 000000006FFC: BEFE0120
	global_atomic_pk_add_f16 v92, v77, s[8:9] offset:256       // 000000007000: DD388100 00084D5C
	s_mov_b64 exec, s[36:37]                                   // 000000007008: BEFE0124
	s_mov_b64 exec, s[34:35]                                   // 00000000700C: BEFE0122
	global_atomic_pk_add_f16 v94, v78, s[8:9]                  // 000000007010: DD388000 00084E5E
	s_mov_b64 exec, s[36:37]                                   // 000000007018: BEFE0124
	s_mov_b64 exec, s[34:35]                                   // 00000000701C: BEFE0122
	global_atomic_pk_add_f16 v94, v79, s[8:9] offset:256       // 000000007020: DD388100 00084F5E
	s_mov_b64 exec, s[36:37]                                   // 000000007028: BEFE0124
	s_add_u32 s8, s59, s8                                      // 00000000702C: 8008083B
	s_addc_u32 s9, 0, s9                                       // 000000007030: 82090980
	s_addk_i32 s80, 0x100                                      // 000000007034: B7500100
	s_cmp_lt_i32 s80, s81                                      // 000000007038: BF045150
	s_cbranch_scc0 label_098E                                  // 00000000703C: BF84F8FE
	s_branch label_0D9E                                        // 000000007040: BF82FD0D

0000000000007044 <label_1091>:
	s_waitcnt vmcnt(0) expcnt(0) lgkmcnt(0)                    // 000000007044: BF8C0000
	s_add_u32 s100, s100, 1                                    // 000000007048: 80648164
	s_cmp_eq_u32 s96, 0                                        // 00000000704C: BF068060
	s_cbranch_scc0 label_0039                                  // 000000007050: BF84EFA4

0000000000007054 <label_1095>:
	s_waitcnt vmcnt(0) expcnt(0) lgkmcnt(0)                    // 000000007054: BF8C0000
	s_endpgm                                                   // 000000007058: BF810000
